;; amdgpu-corpus repo=ROCm/rocFFT kind=compiled arch=gfx1201 opt=O3
	.text
	.amdgcn_target "amdgcn-amd-amdhsa--gfx1201"
	.amdhsa_code_object_version 6
	.protected	fft_rtc_fwd_len336_factors_7_16_3_wgs_126_tpt_21_dim3_dp_op_CI_CI_sbcc_twdbase8_3step_dirReg_intrinsicReadWrite ; -- Begin function fft_rtc_fwd_len336_factors_7_16_3_wgs_126_tpt_21_dim3_dp_op_CI_CI_sbcc_twdbase8_3step_dirReg_intrinsicReadWrite
	.globl	fft_rtc_fwd_len336_factors_7_16_3_wgs_126_tpt_21_dim3_dp_op_CI_CI_sbcc_twdbase8_3step_dirReg_intrinsicReadWrite
	.p2align	8
	.type	fft_rtc_fwd_len336_factors_7_16_3_wgs_126_tpt_21_dim3_dp_op_CI_CI_sbcc_twdbase8_3step_dirReg_intrinsicReadWrite,@function
fft_rtc_fwd_len336_factors_7_16_3_wgs_126_tpt_21_dim3_dp_op_CI_CI_sbcc_twdbase8_3step_dirReg_intrinsicReadWrite: ; @fft_rtc_fwd_len336_factors_7_16_3_wgs_126_tpt_21_dim3_dp_op_CI_CI_sbcc_twdbase8_3step_dirReg_intrinsicReadWrite
; %bb.0:
	s_load_b128 s[4:7], s[0:1], 0x10
	s_mov_b32 s11, 0
	s_mov_b32 s2, 0xaaa80000
	s_movk_i32 s3, 0xaa
	s_mov_b32 s10, s11
	s_delay_alu instid0(SALU_CYCLE_1) | instskip(NEXT) | instid1(SALU_CYCLE_1)
	s_add_nc_u64 s[8:9], s[10:11], s[2:3]
	s_add_co_i32 s9, s9, 0x2aaaaa00
	s_delay_alu instid0(SALU_CYCLE_1) | instskip(NEXT) | instid1(SALU_CYCLE_1)
	s_mul_u64 s[12:13], s[8:9], -6
	s_mul_hi_u32 s15, s8, s13
	s_mul_i32 s14, s8, s13
	s_mul_hi_u32 s10, s8, s12
	s_mul_i32 s17, s9, s12
	s_add_nc_u64 s[14:15], s[10:11], s[14:15]
	s_mul_hi_u32 s16, s9, s12
	s_mul_hi_u32 s18, s9, s13
	s_add_co_u32 s10, s14, s17
	s_wait_kmcnt 0x0
	s_load_b64 s[2:3], s[4:5], 0x8
	s_add_co_ci_u32 s10, s15, s16
	s_mul_i32 s12, s9, s13
	s_add_co_ci_u32 s13, s18, 0
	s_mov_b64 s[18:19], 0
	s_add_nc_u64 s[12:13], s[10:11], s[12:13]
	s_delay_alu instid0(SALU_CYCLE_1) | instskip(NEXT) | instid1(VALU_DEP_1)
	v_add_co_u32 v1, s8, s8, s12
	s_cmp_lg_u32 s8, 0
	s_add_co_ci_u32 s14, s9, s13
	s_delay_alu instid0(VALU_DEP_1)
	v_readfirstlane_b32 s15, v1
	s_wait_kmcnt 0x0
	s_add_nc_u64 s[8:9], s[2:3], -1
	s_wait_alu 0xfffe
	s_mul_hi_u32 s13, s8, s14
	s_mul_i32 s12, s8, s14
	s_mul_hi_u32 s10, s8, s15
	s_mul_hi_u32 s17, s9, s15
	s_mul_i32 s15, s9, s15
	s_wait_alu 0xfffe
	s_add_nc_u64 s[12:13], s[10:11], s[12:13]
	s_mul_hi_u32 s16, s9, s14
	s_wait_alu 0xfffe
	s_add_co_u32 s10, s12, s15
	s_add_co_ci_u32 s10, s13, s17
	s_mul_i32 s14, s9, s14
	s_add_co_ci_u32 s15, s16, 0
	s_delay_alu instid0(SALU_CYCLE_1) | instskip(SKIP_2) | instid1(SALU_CYCLE_1)
	s_add_nc_u64 s[12:13], s[10:11], s[14:15]
	s_wait_alu 0xfffe
	s_mul_u64 s[14:15], s[12:13], 6
	v_sub_co_u32 v1, s8, s8, s14
	s_delay_alu instid0(VALU_DEP_1) | instskip(SKIP_1) | instid1(VALU_DEP_1)
	s_cmp_lg_u32 s8, 0
	s_sub_co_ci_u32 s16, s9, s15
	v_sub_co_u32 v2, s10, v1, 6
	s_delay_alu instid0(VALU_DEP_1) | instskip(SKIP_2) | instid1(VALU_DEP_1)
	s_cmp_lg_u32 s10, 0
	s_add_nc_u64 s[14:15], s[12:13], 2
	s_sub_co_ci_u32 s10, s16, 0
	v_readfirstlane_b32 s8, v2
	s_delay_alu instid0(VALU_DEP_1)
	s_cmp_gt_u32 s8, 5
	s_add_nc_u64 s[8:9], s[12:13], 1
	s_cselect_b32 s17, -1, 0
	s_cmp_eq_u32 s10, 0
	s_cselect_b32 s10, s17, -1
	v_readfirstlane_b32 s17, v1
	s_cmp_lg_u32 s10, 0
	s_wait_alu 0xfffe
	s_cselect_b32 s8, s14, s8
	s_cselect_b32 s9, s15, s9
	s_cmp_gt_u32 s17, 5
	s_cselect_b32 s10, -1, 0
	s_cmp_eq_u32 s16, 0
	s_cselect_b32 s10, s10, -1
	s_delay_alu instid0(SALU_CYCLE_1)
	s_cmp_lg_u32 s10, 0
	s_mov_b32 s10, ttmp9
	s_wait_alu 0xfffe
	s_cselect_b32 s9, s9, s13
	s_cselect_b32 s8, s8, s12
	s_wait_alu 0xfffe
	s_add_nc_u64 s[12:13], s[8:9], 1
	s_wait_alu 0xfffe
	v_cmp_lt_u64_e64 s8, s[10:11], s[12:13]
	s_delay_alu instid0(VALU_DEP_1)
	s_and_b32 vcc_lo, exec_lo, s8
	s_cbranch_vccnz .LBB0_2
; %bb.1:
	v_cvt_f32_u32_e32 v1, s12
	s_sub_co_i32 s9, 0, s12
	s_mov_b32 s19, s11
	s_delay_alu instid0(VALU_DEP_1) | instskip(NEXT) | instid1(TRANS32_DEP_1)
	v_rcp_iflag_f32_e32 v1, v1
	v_mul_f32_e32 v1, 0x4f7ffffe, v1
	s_delay_alu instid0(VALU_DEP_1) | instskip(NEXT) | instid1(VALU_DEP_1)
	v_cvt_u32_f32_e32 v1, v1
	v_readfirstlane_b32 s8, v1
	s_wait_alu 0xfffe
	s_delay_alu instid0(VALU_DEP_1)
	s_mul_i32 s9, s9, s8
	s_wait_alu 0xfffe
	s_mul_hi_u32 s9, s8, s9
	s_wait_alu 0xfffe
	s_add_co_i32 s8, s8, s9
	s_wait_alu 0xfffe
	s_mul_hi_u32 s8, s10, s8
	s_wait_alu 0xfffe
	s_mul_i32 s9, s8, s12
	s_add_co_i32 s14, s8, 1
	s_wait_alu 0xfffe
	s_sub_co_i32 s9, s10, s9
	s_wait_alu 0xfffe
	s_sub_co_i32 s15, s9, s12
	s_cmp_ge_u32 s9, s12
	s_cselect_b32 s8, s14, s8
	s_wait_alu 0xfffe
	s_cselect_b32 s9, s15, s9
	s_add_co_i32 s14, s8, 1
	s_wait_alu 0xfffe
	s_cmp_ge_u32 s9, s12
	s_cselect_b32 s18, s14, s8
.LBB0_2:
	s_load_b64 s[16:17], s[4:5], 0x10
	s_load_b64 s[20:21], s[6:7], 0x8
	s_mov_b64 s[14:15], s[18:19]
	s_wait_kmcnt 0x0
	v_cmp_lt_u64_e64 s4, s[18:19], s[16:17]
	s_delay_alu instid0(VALU_DEP_1)
	s_and_b32 vcc_lo, exec_lo, s4
	s_cbranch_vccnz .LBB0_4
; %bb.3:
	v_cvt_f32_u32_e32 v1, s16
	s_sub_co_i32 s5, 0, s16
	s_mov_b32 s15, 0
	s_delay_alu instid0(VALU_DEP_1) | instskip(NEXT) | instid1(TRANS32_DEP_1)
	v_rcp_iflag_f32_e32 v1, v1
	v_mul_f32_e32 v1, 0x4f7ffffe, v1
	s_delay_alu instid0(VALU_DEP_1) | instskip(NEXT) | instid1(VALU_DEP_1)
	v_cvt_u32_f32_e32 v1, v1
	v_readfirstlane_b32 s4, v1
	s_delay_alu instid0(VALU_DEP_1) | instskip(NEXT) | instid1(SALU_CYCLE_1)
	s_mul_i32 s5, s5, s4
	s_mul_hi_u32 s5, s4, s5
	s_delay_alu instid0(SALU_CYCLE_1) | instskip(NEXT) | instid1(SALU_CYCLE_1)
	s_add_co_i32 s4, s4, s5
	s_mul_hi_u32 s4, s18, s4
	s_delay_alu instid0(SALU_CYCLE_1) | instskip(NEXT) | instid1(SALU_CYCLE_1)
	s_mul_i32 s4, s4, s16
	s_sub_co_i32 s4, s18, s4
	s_delay_alu instid0(SALU_CYCLE_1) | instskip(SKIP_2) | instid1(SALU_CYCLE_1)
	s_sub_co_i32 s5, s4, s16
	s_cmp_ge_u32 s4, s16
	s_cselect_b32 s4, s5, s4
	s_sub_co_i32 s5, s4, s16
	s_cmp_ge_u32 s4, s16
	s_cselect_b32 s14, s5, s4
.LBB0_4:
	s_load_b64 s[4:5], s[0:1], 0x58
	s_clause 0x1
	s_load_b64 s[8:9], s[6:7], 0x0
	s_load_b64 s[22:23], s[6:7], 0x10
	s_mul_u64 s[24:25], s[16:17], s[12:13]
	s_mov_b64 s[16:17], 0
	s_wait_kmcnt 0x0
	v_cmp_lt_u64_e64 s9, s[10:11], s[24:25]
	s_delay_alu instid0(VALU_DEP_1)
	s_and_b32 vcc_lo, exec_lo, s9
	s_cbranch_vccnz .LBB0_6
; %bb.5:
	v_cvt_f32_u32_e32 v1, s24
	s_sub_co_i32 s16, 0, s24
	s_delay_alu instid0(VALU_DEP_1) | instskip(NEXT) | instid1(TRANS32_DEP_1)
	v_rcp_iflag_f32_e32 v1, v1
	v_mul_f32_e32 v1, 0x4f7ffffe, v1
	s_delay_alu instid0(VALU_DEP_1) | instskip(NEXT) | instid1(VALU_DEP_1)
	v_cvt_u32_f32_e32 v1, v1
	v_readfirstlane_b32 s9, v1
	s_wait_alu 0xfffe
	s_delay_alu instid0(VALU_DEP_1)
	s_mul_i32 s16, s16, s9
	s_wait_alu 0xfffe
	s_mul_hi_u32 s16, s9, s16
	s_wait_alu 0xfffe
	s_add_co_i32 s9, s9, s16
	s_wait_alu 0xfffe
	s_mul_hi_u32 s9, s10, s9
	s_wait_alu 0xfffe
	s_mul_i32 s16, s9, s24
	s_add_co_i32 s17, s9, 1
	s_wait_alu 0xfffe
	s_sub_co_i32 s16, s10, s16
	s_wait_alu 0xfffe
	s_sub_co_i32 s25, s16, s24
	s_cmp_ge_u32 s16, s24
	s_cselect_b32 s9, s17, s9
	s_wait_alu 0xfffe
	s_cselect_b32 s16, s25, s16
	s_add_co_i32 s25, s9, 1
	s_wait_alu 0xfffe
	s_cmp_ge_u32 s16, s24
	s_mov_b32 s17, 0
	s_cselect_b32 s16, s25, s9
.LBB0_6:
	v_mul_u32_u24_e32 v1, 0x2aab, v0
	s_load_b64 s[6:7], s[6:7], 0x18
	s_mul_u64 s[12:13], s[18:19], s[12:13]
	v_mov_b32_e32 v11, 0
	s_wait_alu 0xfffe
	s_sub_nc_u64 s[10:11], s[10:11], s[12:13]
	v_lshrrev_b32_e32 v165, 16, v1
	s_wait_alu 0xfffe
	s_mul_u64 s[18:19], s[10:11], 6
	s_mul_u64 s[12:13], s[22:23], s[14:15]
	s_wait_alu 0xfffe
	s_add_nc_u64 s[22:23], s[18:19], 6
	s_mul_u64 s[10:11], s[20:21], s[18:19]
	v_mul_lo_u16 v1, v165, 6
	v_cmp_le_u64_e64 s30, s[22:23], s[2:3]
	s_wait_alu 0xfffe
	s_add_nc_u64 s[10:11], s[12:13], s[10:11]
	v_mov_b32_e32 v12, 0
	v_mov_b32_e32 v3, v11
	v_sub_nc_u16 v1, v0, v1
	s_delay_alu instid0(VALU_DEP_1)
	v_dual_mov_b32 v4, v12 :: v_dual_and_b32 v117, 0xffff, v1
	s_wait_kmcnt 0x0
	s_mul_u64 s[6:7], s[6:7], s[16:17]
	s_wait_alu 0xfffe
	s_add_nc_u64 s[10:11], s[6:7], s[10:11]
	v_mad_co_u64_u32 v[85:86], null, s20, v117, 0
	v_add_co_u32 v137, s9, s18, v117
	s_wait_alu 0xf1ff
	v_add_co_ci_u32_e64 v138, null, s19, 0, s9
	s_delay_alu instid0(VALU_DEP_3) | instskip(NEXT) | instid1(VALU_DEP_2)
	v_mov_b32_e32 v1, v86
	v_cmp_gt_u64_e32 vcc_lo, s[2:3], v[137:138]
	s_delay_alu instid0(VALU_DEP_2) | instskip(SKIP_2) | instid1(SALU_CYCLE_1)
	v_mad_co_u64_u32 v[1:2], null, s21, v117, v[1:2]
	v_dual_mov_b32 v1, v11 :: v_dual_mov_b32 v2, v12
	s_or_b32 s31, s30, vcc_lo
	s_and_saveexec_b32 s3, s31
	s_cbranch_execz .LBB0_8
; %bb.7:
	v_mul_lo_u32 v1, s8, v165
	v_mov_b32_e32 v2, 0
	s_wait_alu 0xfffe
	s_delay_alu instid0(VALU_DEP_2) | instskip(NEXT) | instid1(VALU_DEP_1)
	v_add3_u32 v1, s10, v85, v1
	v_lshlrev_b64_e32 v[1:2], 4, v[1:2]
	s_delay_alu instid0(VALU_DEP_1) | instskip(SKIP_1) | instid1(VALU_DEP_2)
	v_add_co_u32 v1, s2, s4, v1
	s_wait_alu 0xf1ff
	v_add_co_ci_u32_e64 v2, s2, s5, v2, s2
	global_load_b128 v[1:4], v[1:2], off
.LBB0_8:
	s_wait_alu 0xfffe
	s_or_b32 exec_lo, exec_lo, s3
	v_dual_mov_b32 v9, v11 :: v_dual_mov_b32 v10, v12
	s_and_saveexec_b32 s3, s31
	s_cbranch_execz .LBB0_10
; %bb.9:
	v_dual_mov_b32 v6, 0 :: v_dual_add_nc_u32 v5, 48, v165
	s_delay_alu instid0(VALU_DEP_1) | instskip(NEXT) | instid1(VALU_DEP_1)
	v_mul_lo_u32 v5, s8, v5
	v_add3_u32 v5, s10, v85, v5
	s_delay_alu instid0(VALU_DEP_1) | instskip(NEXT) | instid1(VALU_DEP_1)
	v_lshlrev_b64_e32 v[5:6], 4, v[5:6]
	v_add_co_u32 v5, s2, s4, v5
	s_wait_alu 0xf1ff
	s_delay_alu instid0(VALU_DEP_2)
	v_add_co_ci_u32_e64 v6, s2, s5, v6, s2
	global_load_b128 v[9:12], v[5:6], off
.LBB0_10:
	s_wait_alu 0xfffe
	s_or_b32 exec_lo, exec_lo, s3
	v_mov_b32_e32 v15, 0
	v_mov_b32_e32 v16, 0
	s_delay_alu instid0(VALU_DEP_1)
	v_dual_mov_b32 v20, v16 :: v_dual_mov_b32 v19, v15
	v_dual_mov_b32 v18, v16 :: v_dual_mov_b32 v17, v15
	s_and_saveexec_b32 s3, s31
	s_cbranch_execz .LBB0_12
; %bb.11:
	v_or_b32_e32 v5, 0x60, v165
	v_mov_b32_e32 v6, 0
	s_delay_alu instid0(VALU_DEP_2) | instskip(NEXT) | instid1(VALU_DEP_1)
	v_mul_lo_u32 v5, s8, v5
	v_add3_u32 v5, s10, v85, v5
	s_delay_alu instid0(VALU_DEP_1) | instskip(NEXT) | instid1(VALU_DEP_1)
	v_lshlrev_b64_e32 v[5:6], 4, v[5:6]
	v_add_co_u32 v5, s2, s4, v5
	s_wait_alu 0xf1ff
	s_delay_alu instid0(VALU_DEP_2)
	v_add_co_ci_u32_e64 v6, s2, s5, v6, s2
	global_load_b128 v[17:20], v[5:6], off
.LBB0_12:
	s_wait_alu 0xfffe
	s_or_b32 exec_lo, exec_lo, s3
	v_dual_mov_b32 v13, v15 :: v_dual_mov_b32 v14, v16
	s_and_saveexec_b32 s3, s31
	s_cbranch_execz .LBB0_14
; %bb.13:
	v_dual_mov_b32 v6, 0 :: v_dual_add_nc_u32 v5, 0x90, v165
	s_delay_alu instid0(VALU_DEP_1) | instskip(NEXT) | instid1(VALU_DEP_1)
	v_mul_lo_u32 v5, s8, v5
	v_add3_u32 v5, s10, v85, v5
	s_delay_alu instid0(VALU_DEP_1) | instskip(NEXT) | instid1(VALU_DEP_1)
	v_lshlrev_b64_e32 v[5:6], 4, v[5:6]
	v_add_co_u32 v5, s2, s4, v5
	s_wait_alu 0xf1ff
	s_delay_alu instid0(VALU_DEP_2)
	v_add_co_ci_u32_e64 v6, s2, s5, v6, s2
	global_load_b128 v[13:16], v[5:6], off
.LBB0_14:
	s_wait_alu 0xfffe
	s_or_b32 exec_lo, exec_lo, s3
	v_mov_b32_e32 v31, 0
	v_mov_b32_e32 v32, 0
	s_delay_alu instid0(VALU_DEP_2) | instskip(NEXT) | instid1(VALU_DEP_2)
	v_mov_b32_e32 v27, v31
	v_dual_mov_b32 v25, v31 :: v_dual_mov_b32 v26, v32
	v_mov_b32_e32 v28, v32
	s_and_saveexec_b32 s3, s31
	s_cbranch_execz .LBB0_16
; %bb.15:
	v_or_b32_e32 v5, 0xc0, v165
	v_mov_b32_e32 v6, 0
	s_delay_alu instid0(VALU_DEP_2) | instskip(NEXT) | instid1(VALU_DEP_1)
	v_mul_lo_u32 v5, s8, v5
	v_add3_u32 v5, s10, v85, v5
	s_delay_alu instid0(VALU_DEP_1) | instskip(NEXT) | instid1(VALU_DEP_1)
	v_lshlrev_b64_e32 v[5:6], 4, v[5:6]
	v_add_co_u32 v5, s2, s4, v5
	s_wait_alu 0xf1ff
	s_delay_alu instid0(VALU_DEP_2)
	v_add_co_ci_u32_e64 v6, s2, s5, v6, s2
	global_load_b128 v[25:28], v[5:6], off
.LBB0_16:
	s_wait_alu 0xfffe
	s_or_b32 exec_lo, exec_lo, s3
	v_dual_mov_b32 v29, v31 :: v_dual_mov_b32 v30, v32
	s_and_saveexec_b32 s3, s31
	s_cbranch_execz .LBB0_18
; %bb.17:
	v_dual_mov_b32 v6, 0 :: v_dual_add_nc_u32 v5, 0xf0, v165
	s_delay_alu instid0(VALU_DEP_1) | instskip(NEXT) | instid1(VALU_DEP_1)
	v_mul_lo_u32 v5, s8, v5
	v_add3_u32 v5, s10, v85, v5
	s_delay_alu instid0(VALU_DEP_1) | instskip(NEXT) | instid1(VALU_DEP_1)
	v_lshlrev_b64_e32 v[5:6], 4, v[5:6]
	v_add_co_u32 v5, s2, s4, v5
	s_wait_alu 0xf1ff
	s_delay_alu instid0(VALU_DEP_2)
	v_add_co_ci_u32_e64 v6, s2, s5, v6, s2
	global_load_b128 v[29:32], v[5:6], off
.LBB0_18:
	s_wait_alu 0xfffe
	s_or_b32 exec_lo, exec_lo, s3
	v_mov_b32_e32 v7, 0
	v_mov_b32_e32 v8, 0
	s_delay_alu instid0(VALU_DEP_1)
	v_dual_mov_b32 v40, v8 :: v_dual_mov_b32 v39, v7
	v_dual_mov_b32 v38, v8 :: v_dual_mov_b32 v37, v7
	s_and_saveexec_b32 s3, s31
	s_cbranch_execz .LBB0_20
; %bb.19:
	v_or_b32_e32 v5, 0x120, v165
	v_mov_b32_e32 v6, 0
	s_delay_alu instid0(VALU_DEP_2) | instskip(NEXT) | instid1(VALU_DEP_1)
	v_mul_lo_u32 v5, s8, v5
	v_add3_u32 v5, s10, v85, v5
	s_delay_alu instid0(VALU_DEP_1) | instskip(NEXT) | instid1(VALU_DEP_1)
	v_lshlrev_b64_e32 v[5:6], 4, v[5:6]
	v_add_co_u32 v5, s2, s4, v5
	s_wait_alu 0xf1ff
	s_delay_alu instid0(VALU_DEP_2)
	v_add_co_ci_u32_e64 v6, s2, s5, v6, s2
	global_load_b128 v[37:40], v[5:6], off
.LBB0_20:
	s_wait_alu 0xfffe
	s_or_b32 exec_lo, exec_lo, s3
	v_mov_b32_e32 v5, v7
	v_dual_mov_b32 v6, v8 :: v_dual_add_nc_u32 v239, 21, v165
	s_and_saveexec_b32 s3, s31
	s_cbranch_execz .LBB0_22
; %bb.21:
	s_delay_alu instid0(VALU_DEP_1) | instskip(SKIP_1) | instid1(VALU_DEP_2)
	v_mul_lo_u32 v5, s8, v239
	v_mov_b32_e32 v6, 0
	v_add3_u32 v5, s10, v85, v5
	s_delay_alu instid0(VALU_DEP_1) | instskip(NEXT) | instid1(VALU_DEP_1)
	v_lshlrev_b64_e32 v[5:6], 4, v[5:6]
	v_add_co_u32 v5, s2, s4, v5
	s_wait_alu 0xf1ff
	s_delay_alu instid0(VALU_DEP_2)
	v_add_co_ci_u32_e64 v6, s2, s5, v6, s2
	global_load_b128 v[5:8], v[5:6], off
.LBB0_22:
	s_wait_alu 0xfffe
	s_or_b32 exec_lo, exec_lo, s3
	v_mov_b32_e32 v35, 0
	v_mov_b32_e32 v36, 0
	s_delay_alu instid0(VALU_DEP_1)
	v_dual_mov_b32 v52, v36 :: v_dual_mov_b32 v51, v35
	v_dual_mov_b32 v50, v36 :: v_dual_mov_b32 v49, v35
	s_and_saveexec_b32 s3, s31
	s_cbranch_execz .LBB0_24
; %bb.23:
	v_dual_mov_b32 v22, 0 :: v_dual_add_nc_u32 v21, 0x45, v165
	s_delay_alu instid0(VALU_DEP_1) | instskip(NEXT) | instid1(VALU_DEP_1)
	v_mul_lo_u32 v21, s8, v21
	v_add3_u32 v21, s10, v85, v21
	s_delay_alu instid0(VALU_DEP_1) | instskip(NEXT) | instid1(VALU_DEP_1)
	v_lshlrev_b64_e32 v[21:22], 4, v[21:22]
	v_add_co_u32 v21, s2, s4, v21
	s_wait_alu 0xf1ff
	s_delay_alu instid0(VALU_DEP_2)
	v_add_co_ci_u32_e64 v22, s2, s5, v22, s2
	global_load_b128 v[49:52], v[21:22], off
.LBB0_24:
	s_wait_alu 0xfffe
	s_or_b32 exec_lo, exec_lo, s3
	v_dual_mov_b32 v33, v35 :: v_dual_mov_b32 v34, v36
	s_and_saveexec_b32 s3, s31
	s_cbranch_execz .LBB0_26
; %bb.25:
	v_dual_mov_b32 v22, 0 :: v_dual_add_nc_u32 v21, 0x75, v165
	s_delay_alu instid0(VALU_DEP_1) | instskip(NEXT) | instid1(VALU_DEP_1)
	v_mul_lo_u32 v21, s8, v21
	v_add3_u32 v21, s10, v85, v21
	s_delay_alu instid0(VALU_DEP_1) | instskip(NEXT) | instid1(VALU_DEP_1)
	v_lshlrev_b64_e32 v[21:22], 4, v[21:22]
	v_add_co_u32 v21, s2, s4, v21
	s_wait_alu 0xf1ff
	s_delay_alu instid0(VALU_DEP_2)
	v_add_co_ci_u32_e64 v22, s2, s5, v22, s2
	global_load_b128 v[33:36], v[21:22], off
.LBB0_26:
	s_wait_alu 0xfffe
	s_or_b32 exec_lo, exec_lo, s3
	v_mov_b32_e32 v43, 0
	v_mov_b32_e32 v44, 0
	s_delay_alu instid0(VALU_DEP_1)
	v_dual_mov_b32 v48, v44 :: v_dual_mov_b32 v47, v43
	v_dual_mov_b32 v46, v44 :: v_dual_mov_b32 v45, v43
	s_and_saveexec_b32 s3, s31
	s_cbranch_execz .LBB0_28
; %bb.27:
	v_dual_mov_b32 v22, 0 :: v_dual_add_nc_u32 v21, 0xa5, v165
	s_delay_alu instid0(VALU_DEP_1) | instskip(NEXT) | instid1(VALU_DEP_1)
	v_mul_lo_u32 v21, s8, v21
	v_add3_u32 v21, s10, v85, v21
	s_delay_alu instid0(VALU_DEP_1) | instskip(NEXT) | instid1(VALU_DEP_1)
	v_lshlrev_b64_e32 v[21:22], 4, v[21:22]
	v_add_co_u32 v21, s2, s4, v21
	s_wait_alu 0xf1ff
	s_delay_alu instid0(VALU_DEP_2)
	v_add_co_ci_u32_e64 v22, s2, s5, v22, s2
	global_load_b128 v[45:48], v[21:22], off
.LBB0_28:
	s_wait_alu 0xfffe
	s_or_b32 exec_lo, exec_lo, s3
	v_dual_mov_b32 v41, v43 :: v_dual_mov_b32 v42, v44
	s_and_saveexec_b32 s3, s31
	s_cbranch_execz .LBB0_30
; %bb.29:
	v_dual_mov_b32 v22, 0 :: v_dual_add_nc_u32 v21, 0xd5, v165
	s_delay_alu instid0(VALU_DEP_1) | instskip(NEXT) | instid1(VALU_DEP_1)
	v_mul_lo_u32 v21, s8, v21
	v_add3_u32 v21, s10, v85, v21
	s_delay_alu instid0(VALU_DEP_1) | instskip(NEXT) | instid1(VALU_DEP_1)
	v_lshlrev_b64_e32 v[21:22], 4, v[21:22]
	v_add_co_u32 v21, s2, s4, v21
	s_wait_alu 0xf1ff
	s_delay_alu instid0(VALU_DEP_2)
	v_add_co_ci_u32_e64 v22, s2, s5, v22, s2
	global_load_b128 v[41:44], v[21:22], off
.LBB0_30:
	s_wait_alu 0xfffe
	s_or_b32 exec_lo, exec_lo, s3
	v_mov_b32_e32 v63, 0
	v_mov_b32_e32 v64, 0
	s_delay_alu instid0(VALU_DEP_2) | instskip(NEXT) | instid1(VALU_DEP_2)
	v_mov_b32_e32 v55, v63
	v_dual_mov_b32 v53, v63 :: v_dual_mov_b32 v54, v64
	v_mov_b32_e32 v56, v64
	s_and_saveexec_b32 s3, s31
	s_cbranch_execz .LBB0_32
; %bb.31:
	v_dual_mov_b32 v22, 0 :: v_dual_add_nc_u32 v21, 0x105, v165
	s_delay_alu instid0(VALU_DEP_1) | instskip(NEXT) | instid1(VALU_DEP_1)
	v_mul_lo_u32 v21, s8, v21
	v_add3_u32 v21, s10, v85, v21
	s_delay_alu instid0(VALU_DEP_1) | instskip(NEXT) | instid1(VALU_DEP_1)
	v_lshlrev_b64_e32 v[21:22], 4, v[21:22]
	v_add_co_u32 v21, s2, s4, v21
	s_wait_alu 0xf1ff
	s_delay_alu instid0(VALU_DEP_2)
	v_add_co_ci_u32_e64 v22, s2, s5, v22, s2
	global_load_b128 v[53:56], v[21:22], off
.LBB0_32:
	s_wait_alu 0xfffe
	s_or_b32 exec_lo, exec_lo, s3
	v_dual_mov_b32 v61, v63 :: v_dual_mov_b32 v62, v64
	s_and_saveexec_b32 s3, s31
	s_cbranch_execz .LBB0_34
; %bb.33:
	v_dual_mov_b32 v22, 0 :: v_dual_add_nc_u32 v21, 0x135, v165
	s_delay_alu instid0(VALU_DEP_1) | instskip(NEXT) | instid1(VALU_DEP_1)
	v_mul_lo_u32 v21, s8, v21
	v_add3_u32 v21, s10, v85, v21
	s_delay_alu instid0(VALU_DEP_1) | instskip(NEXT) | instid1(VALU_DEP_1)
	v_lshlrev_b64_e32 v[21:22], 4, v[21:22]
	v_add_co_u32 v21, s2, s4, v21
	s_wait_alu 0xf1ff
	s_delay_alu instid0(VALU_DEP_2)
	v_add_co_ci_u32_e64 v22, s2, s5, v22, s2
	global_load_b128 v[61:64], v[21:22], off
.LBB0_34:
	s_wait_alu 0xfffe
	s_or_b32 exec_lo, exec_lo, s3
	v_cmp_gt_u32_e64 s3, 36, v0
	v_cmp_lt_u32_e64 s2, 35, v0
	v_cndmask_b32_e64 v241, 0, 1, vcc_lo
	v_mov_b32_e32 v59, 0
	v_mov_b32_e32 v60, 0
	s_wait_alu 0xf1ff
	v_cndmask_b32_e64 v21, 0, 1, s3
	s_or_b32 vcc_lo, s2, s30
	v_mov_b32_e32 v23, v59
	v_dual_mov_b32 v24, v60 :: v_dual_add_nc_u32 v255, 42, v165
	s_wait_alu 0xfffe
	v_cndmask_b32_e32 v21, v241, v21, vcc_lo
	s_delay_alu instid0(VALU_DEP_1) | instskip(NEXT) | instid1(VALU_DEP_1)
	v_and_b32_e32 v21, 1, v21
	v_cmp_eq_u32_e32 vcc_lo, 1, v21
	v_dual_mov_b32 v21, v59 :: v_dual_mov_b32 v22, v60
	s_and_saveexec_b32 s3, vcc_lo
	s_cbranch_execz .LBB0_36
; %bb.35:
	v_mul_lo_u32 v21, s8, v255
	v_mov_b32_e32 v22, 0
	s_delay_alu instid0(VALU_DEP_2) | instskip(NEXT) | instid1(VALU_DEP_1)
	v_add3_u32 v21, s10, v85, v21
	v_lshlrev_b64_e32 v[21:22], 4, v[21:22]
	s_delay_alu instid0(VALU_DEP_1) | instskip(SKIP_1) | instid1(VALU_DEP_2)
	v_add_co_u32 v21, s2, s4, v21
	s_wait_alu 0xf1ff
	v_add_co_ci_u32_e64 v22, s2, s5, v22, s2
	global_load_b128 v[21:24], v[21:22], off
.LBB0_36:
	s_wait_alu 0xfffe
	s_or_b32 exec_lo, exec_lo, s3
	v_dual_mov_b32 v57, v59 :: v_dual_mov_b32 v58, v60
	s_and_saveexec_b32 s3, vcc_lo
	s_cbranch_execz .LBB0_38
; %bb.37:
	v_dual_mov_b32 v58, 0 :: v_dual_add_nc_u32 v57, 0x5a, v165
	s_delay_alu instid0(VALU_DEP_1) | instskip(NEXT) | instid1(VALU_DEP_1)
	v_mul_lo_u32 v57, s8, v57
	v_add3_u32 v57, s10, v85, v57
	s_delay_alu instid0(VALU_DEP_1) | instskip(NEXT) | instid1(VALU_DEP_1)
	v_lshlrev_b64_e32 v[57:58], 4, v[57:58]
	v_add_co_u32 v57, s2, s4, v57
	s_wait_alu 0xf1ff
	s_delay_alu instid0(VALU_DEP_2)
	v_add_co_ci_u32_e64 v58, s2, s5, v58, s2
	global_load_b128 v[57:60], v[57:58], off
.LBB0_38:
	s_wait_alu 0xfffe
	s_or_b32 exec_lo, exec_lo, s3
	v_mov_b32_e32 v67, 0
	v_mov_b32_e32 v68, 0
	s_delay_alu instid0(VALU_DEP_1)
	v_dual_mov_b32 v72, v68 :: v_dual_mov_b32 v71, v67
	v_dual_mov_b32 v70, v68 :: v_dual_mov_b32 v69, v67
	s_and_saveexec_b32 s3, vcc_lo
	s_cbranch_execz .LBB0_40
; %bb.39:
	v_dual_mov_b32 v66, 0 :: v_dual_add_nc_u32 v65, 0x8a, v165
	s_delay_alu instid0(VALU_DEP_1) | instskip(NEXT) | instid1(VALU_DEP_1)
	v_mul_lo_u32 v65, s8, v65
	v_add3_u32 v65, s10, v85, v65
	s_delay_alu instid0(VALU_DEP_1) | instskip(NEXT) | instid1(VALU_DEP_1)
	v_lshlrev_b64_e32 v[65:66], 4, v[65:66]
	v_add_co_u32 v65, s2, s4, v65
	s_wait_alu 0xf1ff
	s_delay_alu instid0(VALU_DEP_2)
	v_add_co_ci_u32_e64 v66, s2, s5, v66, s2
	global_load_b128 v[69:72], v[65:66], off
.LBB0_40:
	s_wait_alu 0xfffe
	s_or_b32 exec_lo, exec_lo, s3
	v_dual_mov_b32 v65, v67 :: v_dual_mov_b32 v66, v68
	s_and_saveexec_b32 s3, vcc_lo
	s_cbranch_execz .LBB0_42
; %bb.41:
	v_dual_mov_b32 v66, 0 :: v_dual_add_nc_u32 v65, 0xba, v165
	s_delay_alu instid0(VALU_DEP_1) | instskip(NEXT) | instid1(VALU_DEP_1)
	v_mul_lo_u32 v65, s8, v65
	v_add3_u32 v65, s10, v85, v65
	s_delay_alu instid0(VALU_DEP_1) | instskip(NEXT) | instid1(VALU_DEP_1)
	v_lshlrev_b64_e32 v[65:66], 4, v[65:66]
	v_add_co_u32 v65, s2, s4, v65
	s_wait_alu 0xf1ff
	s_delay_alu instid0(VALU_DEP_2)
	v_add_co_ci_u32_e64 v66, s2, s5, v66, s2
	global_load_b128 v[65:68], v[65:66], off
.LBB0_42:
	s_wait_alu 0xfffe
	s_or_b32 exec_lo, exec_lo, s3
	v_mov_b32_e32 v79, 0
	v_mov_b32_e32 v80, 0
	s_delay_alu instid0(VALU_DEP_2) | instskip(NEXT) | instid1(VALU_DEP_2)
	v_mov_b32_e32 v75, v79
	v_dual_mov_b32 v73, v79 :: v_dual_mov_b32 v74, v80
	v_mov_b32_e32 v76, v80
	s_and_saveexec_b32 s3, vcc_lo
	s_cbranch_execz .LBB0_44
; %bb.43:
	v_dual_mov_b32 v74, 0 :: v_dual_add_nc_u32 v73, 0xea, v165
	s_delay_alu instid0(VALU_DEP_1) | instskip(NEXT) | instid1(VALU_DEP_1)
	v_mul_lo_u32 v73, s8, v73
	v_add3_u32 v73, s10, v85, v73
	s_delay_alu instid0(VALU_DEP_1) | instskip(NEXT) | instid1(VALU_DEP_1)
	v_lshlrev_b64_e32 v[73:74], 4, v[73:74]
	v_add_co_u32 v73, s2, s4, v73
	s_wait_alu 0xf1ff
	s_delay_alu instid0(VALU_DEP_2)
	v_add_co_ci_u32_e64 v74, s2, s5, v74, s2
	global_load_b128 v[73:76], v[73:74], off
.LBB0_44:
	s_wait_alu 0xfffe
	s_or_b32 exec_lo, exec_lo, s3
	s_load_b64 s[6:7], s[0:1], 0x20
	v_dual_mov_b32 v77, v79 :: v_dual_mov_b32 v78, v80
	s_and_saveexec_b32 s3, vcc_lo
	s_cbranch_execz .LBB0_46
; %bb.45:
	v_dual_mov_b32 v78, 0 :: v_dual_add_nc_u32 v77, 0x11a, v165
	s_delay_alu instid0(VALU_DEP_1) | instskip(NEXT) | instid1(VALU_DEP_1)
	v_mul_lo_u32 v77, s8, v77
	v_add3_u32 v77, s10, v85, v77
	s_delay_alu instid0(VALU_DEP_1) | instskip(NEXT) | instid1(VALU_DEP_1)
	v_lshlrev_b64_e32 v[77:78], 4, v[77:78]
	v_add_co_u32 v77, s2, s4, v77
	s_wait_alu 0xf1ff
	s_delay_alu instid0(VALU_DEP_2)
	v_add_co_ci_u32_e64 v78, s2, s5, v78, s2
	global_load_b128 v[77:80], v[77:78], off
.LBB0_46:
	s_wait_alu 0xfffe
	s_or_b32 exec_lo, exec_lo, s3
	s_load_b64 s[2:3], s[0:1], 0x0
	v_mov_b32_e32 v83, 0
	v_mov_b32_e32 v84, 0
	s_delay_alu instid0(VALU_DEP_1)
	v_dual_mov_b32 v81, v83 :: v_dual_mov_b32 v82, v84
	s_and_saveexec_b32 s9, vcc_lo
	s_cbranch_execz .LBB0_48
; %bb.47:
	v_dual_mov_b32 v82, 0 :: v_dual_add_nc_u32 v81, 0x14a, v165
	s_delay_alu instid0(VALU_DEP_1) | instskip(NEXT) | instid1(VALU_DEP_1)
	v_mul_lo_u32 v81, s8, v81
	v_add3_u32 v81, s10, v85, v81
	s_delay_alu instid0(VALU_DEP_1) | instskip(NEXT) | instid1(VALU_DEP_1)
	v_lshlrev_b64_e32 v[81:82], 4, v[81:82]
	v_add_co_u32 v81, vcc_lo, s4, v81
	s_wait_alu 0xfffd
	s_delay_alu instid0(VALU_DEP_2)
	v_add_co_ci_u32_e32 v82, vcc_lo, s5, v82, vcc_lo
	global_load_b128 v[81:84], v[81:82], off
.LBB0_48:
	s_wait_alu 0xfffe
	s_or_b32 exec_lo, exec_lo, s9
	s_wait_loadcnt 0x0
	v_add_f64_e32 v[85:86], v[9:10], v[37:38]
	v_add_f64_e32 v[87:88], v[11:12], v[39:40]
	;; [unrolled: 1-line block ×8, first 2 shown]
	v_add_f64_e64 v[9:10], v[9:10], -v[37:38]
	v_add_f64_e64 v[11:12], v[11:12], -v[39:40]
	;; [unrolled: 1-line block ×4, first 2 shown]
	v_add_f64_e32 v[29:30], v[13:14], v[25:26]
	v_add_f64_e32 v[31:32], v[15:16], v[27:28]
	v_add_f64_e64 v[13:14], v[25:26], -v[13:14]
	v_add_f64_e64 v[15:16], v[27:28], -v[15:16]
	;; [unrolled: 1-line block ×4, first 2 shown]
	v_add_f64_e32 v[25:26], v[57:58], v[81:82]
	v_add_f64_e32 v[27:28], v[59:60], v[83:84]
	v_add_f64_e32 v[49:50], v[69:70], v[77:78]
	v_add_f64_e32 v[51:52], v[71:72], v[79:80]
	v_add_f64_e64 v[33:34], v[33:34], -v[53:54]
	v_add_f64_e64 v[35:36], v[35:36], -v[55:56]
	v_add_f64_e32 v[53:54], v[45:46], v[41:42]
	v_add_f64_e32 v[55:56], v[47:48], v[43:44]
	v_add_f64_e64 v[41:42], v[41:42], -v[45:46]
	v_add_f64_e64 v[43:44], v[43:44], -v[47:48]
	;; [unrolled: 1-line block ×6, first 2 shown]
	v_add_f64_e32 v[61:62], v[65:66], v[73:74]
	v_add_f64_e32 v[63:64], v[67:68], v[75:76]
	v_add_f64_e64 v[65:66], v[73:74], -v[65:66]
	v_add_f64_e64 v[67:68], v[75:76], -v[67:68]
	s_mov_b32 s20, 0x36b3c0b5
	s_mov_b32 s24, 0xe976ee23
	;; [unrolled: 1-line block ×4, first 2 shown]
	v_add_f64_e32 v[69:70], v[89:90], v[85:86]
	v_add_f64_e32 v[71:72], v[91:92], v[87:88]
	v_add_f64_e64 v[81:82], v[89:90], -v[85:86]
	s_mov_b32 s21, 0x3fac98ee
	v_add_f64_e32 v[73:74], v[97:98], v[93:94]
	v_add_f64_e32 v[75:76], v[99:100], v[95:96]
	v_add_f64_e64 v[113:114], v[97:98], -v[93:94]
	v_add_f64_e64 v[115:116], v[99:100], -v[95:96]
	v_add_f64_e64 v[105:106], v[17:18], -v[9:10]
	v_add_f64_e64 v[109:110], v[19:20], -v[11:12]
	v_add_f64_e64 v[83:84], v[29:30], -v[89:90]
	v_add_f64_e64 v[89:90], v[91:92], -v[87:88]
	v_add_f64_e64 v[91:92], v[31:32], -v[91:92]
	v_add_f64_e32 v[101:102], v[13:14], v[17:18]
	v_add_f64_e64 v[103:104], v[13:14], -v[17:18]
	v_add_f64_e64 v[17:18], v[15:16], -v[19:20]
	v_add_f64_e32 v[107:108], v[15:16], v[19:20]
	v_add_f64_e64 v[19:20], v[85:86], -v[29:30]
	v_add_f64_e32 v[77:78], v[49:50], v[25:26]
	v_add_f64_e32 v[79:80], v[51:52], v[27:28]
	v_add_f64_e64 v[85:86], v[87:88], -v[31:32]
	s_mov_b32 s25, 0xbfe11646
	v_add_f64_e64 v[97:98], v[53:54], -v[97:98]
	v_add_f64_e64 v[99:100], v[55:56], -v[99:100]
	v_add_f64_e32 v[118:119], v[41:42], v[33:34]
	v_add_f64_e32 v[120:121], v[43:44], v[35:36]
	s_mov_b32 s5, 0x3febfeb5
	s_mov_b32 s29, 0x3fe948f6
	v_add_f64_e64 v[126:127], v[57:58], -v[45:46]
	v_add_f64_e64 v[128:129], v[59:60], -v[47:48]
	;; [unrolled: 1-line block ×9, first 2 shown]
	v_add_f64_e32 v[148:149], v[65:66], v[57:58]
	v_add_f64_e32 v[69:70], v[29:30], v[69:70]
	;; [unrolled: 1-line block ×3, first 2 shown]
	v_add_f64_e64 v[29:30], v[41:42], -v[33:34]
	v_add_f64_e64 v[33:34], v[33:34], -v[37:38]
	v_add_f64_e32 v[73:74], v[53:54], v[73:74]
	v_add_f64_e32 v[75:76], v[55:56], v[75:76]
	v_add_f64_e64 v[31:32], v[43:44], -v[35:36]
	v_add_f64_e64 v[35:36], v[35:36], -v[39:40]
	;; [unrolled: 1-line block ×7, first 2 shown]
	s_wait_alu 0xfffe
	v_mul_f64_e32 v[138:139], s[20:21], v[91:92]
	v_mul_f64_e32 v[103:104], s[24:25], v[103:104]
	;; [unrolled: 1-line block ×5, first 2 shown]
	v_add_f64_e32 v[77:78], v[61:62], v[77:78]
	v_add_f64_e32 v[63:64], v[63:64], v[79:80]
	v_mul_f64_e32 v[79:80], s[20:21], v[83:84]
	v_mul_f64_e32 v[146:147], s[28:29], v[19:20]
	v_mul_f64_e32 v[85:86], s[28:29], v[85:86]
	v_add_f64_e64 v[49:50], v[49:50], -v[25:26]
	v_add_f64_e64 v[51:52], v[51:52], -v[27:28]
	;; [unrolled: 1-line block ×4, first 2 shown]
	v_mul_f64_e32 v[65:66], s[20:21], v[99:100]
	v_add_f64_e32 v[101:102], v[101:102], v[9:10]
	v_add_f64_e32 v[107:108], v[107:108], v[11:12]
	s_mov_b32 s10, 0xaaaaaaaa
	v_mul_f64_e32 v[19:20], s[28:29], v[122:123]
	v_mul_f64_e32 v[25:26], s[24:25], v[124:125]
	;; [unrolled: 1-line block ×4, first 2 shown]
	s_mov_b32 s8, 0x5476071b
	s_mov_b32 s12, 0xb247c609
	;; [unrolled: 1-line block ×3, first 2 shown]
	v_add_f64_e32 v[55:56], v[1:2], v[69:70]
	v_add_f64_e32 v[57:58], v[3:4], v[71:72]
	;; [unrolled: 1-line block ×3, first 2 shown]
	v_mul_f64_e32 v[3:4], s[20:21], v[97:98]
	v_add_f64_e32 v[59:60], v[5:6], v[73:74]
	v_add_f64_e32 v[61:62], v[7:8], v[75:76]
	v_mul_f64_e32 v[5:6], s[24:25], v[29:30]
	v_mul_f64_e32 v[7:8], s[24:25], v[31:32]
	;; [unrolled: 1-line block ×10, first 2 shown]
	s_mov_b32 s9, 0x3fe77f67
	s_mov_b32 s23, 0xbfe77f67
	v_add_f64_e32 v[9:10], v[21:22], v[77:78]
	v_add_f64_e32 v[11:12], v[23:24], v[63:64]
	s_mov_b32 s13, 0x3fd5d0dc
	s_mov_b32 s27, 0xbfd5d0dc
	s_wait_alu 0xfffe
	s_mov_b32 s26, s12
	s_mov_b32 s22, s8
	v_fma_f64 v[79:80], v[81:82], s[8:9], -v[79:80]
	v_fma_f64 v[124:125], v[89:90], s[8:9], -v[138:139]
	;; [unrolled: 1-line block ×6, first 2 shown]
	s_wait_alu 0xfffe
	v_fma_f64 v[81:82], v[81:82], s[22:23], -v[146:147]
	v_fma_f64 v[89:90], v[89:90], s[22:23], -v[85:86]
	v_fma_f64 v[87:88], v[87:88], s[12:13], v[103:104]
	v_fma_f64 v[103:104], v[111:112], s[12:13], v[140:141]
	;; [unrolled: 1-line block ×4, first 2 shown]
	v_add_f64_e32 v[37:38], v[118:119], v[37:38]
	v_add_f64_e32 v[39:40], v[120:121], v[39:40]
	v_fma_f64 v[69:70], v[69:70], s[10:11], v[55:56]
	v_fma_f64 v[71:72], v[71:72], s[10:11], v[57:58]
	v_fma_f64 v[65:66], v[115:116], s[8:9], -v[65:66]
	v_fma_f64 v[3:4], v[113:114], s[8:9], -v[3:4]
	v_fma_f64 v[73:74], v[73:74], s[10:11], v[59:60]
	v_fma_f64 v[75:76], v[75:76], s[10:11], v[61:62]
	v_fma_f64 v[91:92], v[33:34], s[4:5], -v[5:6]
	v_fma_f64 v[111:112], v[35:36], s[4:5], -v[7:8]
	v_fma_f64 v[67:68], v[41:42], s[26:27], -v[67:68]
	v_fma_f64 v[118:119], v[43:44], s[26:27], -v[150:151]
	v_fma_f64 v[113:114], v[113:114], s[22:23], -v[53:54]
	v_fma_f64 v[115:116], v[115:116], s[22:23], -v[93:94]
	v_fma_f64 v[5:6], v[41:42], s[12:13], v[5:6]
	v_fma_f64 v[7:8], v[43:44], s[12:13], v[7:8]
	;; [unrolled: 1-line block ×4, first 2 shown]
	v_add_f64_e32 v[21:22], v[148:149], v[45:46]
	v_add_f64_e32 v[23:24], v[1:2], v[47:48]
	v_fma_f64 v[1:2], v[126:127], s[4:5], -v[25:26]
	v_fma_f64 v[43:44], v[13:14], s[26:27], -v[95:96]
	;; [unrolled: 1-line block ×6, first 2 shown]
	v_fma_f64 v[33:34], v[77:78], s[10:11], v[9:10]
	v_fma_f64 v[35:36], v[63:64], s[10:11], v[11:12]
	v_fma_f64 v[63:64], v[49:50], s[8:9], -v[29:30]
	v_fma_f64 v[77:78], v[51:52], s[8:9], -v[31:32]
	s_mov_b32 s20, 0x37c3f68c
	s_mov_b32 s21, 0x3fdc38aa
	s_wait_kmcnt 0x0
	s_load_b256 s[4:11], s[6:7], 0x0
	v_fma_f64 v[97:98], v[101:102], s[20:21], v[105:106]
	v_fma_f64 v[99:100], v[107:108], s[20:21], v[109:110]
	;; [unrolled: 1-line block ×6, first 2 shown]
	s_wait_kmcnt 0x0
	s_mov_b32 s5, exec_lo
	v_add_f64_e32 v[79:80], v[79:80], v[69:70]
	v_add_f64_e32 v[120:121], v[124:125], v[71:72]
	;; [unrolled: 1-line block ×6, first 2 shown]
	v_fma_f64 v[103:104], v[37:38], s[20:21], v[91:92]
	v_fma_f64 v[91:92], v[39:40], s[20:21], v[111:112]
	;; [unrolled: 1-line block ×4, first 2 shown]
	v_add_f64_e32 v[3:4], v[3:4], v[73:74]
	v_add_f64_e32 v[118:119], v[65:66], v[75:76]
	v_fma_f64 v[5:6], v[37:38], s[20:21], v[5:6]
	v_fma_f64 v[7:8], v[39:40], s[20:21], v[7:8]
	v_add_f64_e32 v[115:116], v[115:116], v[75:76]
	v_add_f64_e32 v[53:54], v[53:54], v[75:76]
	;; [unrolled: 1-line block ×3, first 2 shown]
	v_fma_f64 v[37:38], v[21:22], s[20:21], v[1:2]
	v_fma_f64 v[43:44], v[21:22], s[20:21], v[43:44]
	v_add_f64_e32 v[1:2], v[41:42], v[73:74]
	v_fma_f64 v[45:46], v[23:24], s[20:21], v[45:46]
	v_fma_f64 v[39:40], v[23:24], s[20:21], v[95:96]
	v_add_f64_e32 v[49:50], v[47:48], v[33:34]
	v_add_f64_e32 v[51:52], v[93:94], v[35:36]
	;; [unrolled: 1-line block ×4, first 2 shown]
	v_add_f64_e64 v[63:64], v[79:80], -v[99:100]
	v_add_f64_e32 v[65:66], v[97:98], v[120:121]
	v_add_f64_e32 v[67:68], v[99:100], v[79:80]
	v_add_f64_e64 v[69:70], v[120:121], -v[97:98]
	v_add_f64_e32 v[71:72], v[109:110], v[81:82]
	v_add_f64_e64 v[73:74], v[89:90], -v[105:106]
	v_add_f64_e64 v[75:76], v[81:82], -v[109:110]
	v_add_f64_e32 v[77:78], v[105:106], v[89:90]
	v_add_f64_e32 v[79:80], v[101:102], v[83:84]
	v_add_f64_e64 v[81:82], v[85:86], -v[87:88]
	v_add_f64_e64 v[83:84], v[83:84], -v[101:102]
	v_add_f64_e32 v[85:86], v[87:88], v[85:86]
	v_add_f64_e64 v[87:88], v[3:4], -v[91:92]
	v_add_f64_e32 v[89:90], v[103:104], v[118:119]
	v_add_f64_e32 v[91:92], v[91:92], v[3:4]
	v_add_f64_e64 v[93:94], v[118:119], -v[103:104]
	v_add_f64_e64 v[97:98], v[115:116], -v[107:108]
	v_add_f64_e32 v[101:102], v[107:108], v[115:116]
	v_add_f64_e64 v[105:106], v[53:54], -v[5:6]
	v_add_f64_e32 v[109:110], v[5:6], v[53:54]
	v_add_f64_e32 v[103:104], v[7:8], v[1:2]
	v_add_f64_e64 v[107:108], v[1:2], -v[7:8]
	v_add_f64_e32 v[95:96], v[111:112], v[113:114]
	v_add_f64_e64 v[99:100], v[113:114], -v[111:112]
	;; [unrolled: 2-line block ×3, first 2 shown]
	v_add_f64_e64 v[5:6], v[41:42], -v[39:40]
	v_add_f64_e32 v[7:8], v[37:38], v[47:48]
	v_mad_u32_u24 v111, 0x2a0, v165, 0
	v_lshlrev_b32_e32 v53, 4, v117
	s_delay_alu instid0(VALU_DEP_2) | instskip(NEXT) | instid1(VALU_DEP_2)
	v_add_nc_u32_e32 v54, 0x3720, v111
	v_add_nc_u32_e32 v111, v111, v53
	s_delay_alu instid0(VALU_DEP_2)
	v_add_nc_u32_e32 v112, v54, v53
	ds_store_b128 v111, v[55:58]
	ds_store_b128 v111, v[79:82] offset:96
	ds_store_b128 v111, v[71:74] offset:192
	;; [unrolled: 1-line block ×6, first 2 shown]
	ds_store_b128 v112, v[59:62]
	ds_store_b128 v112, v[103:106] offset:96
	ds_store_b128 v112, v[95:98] offset:192
	ds_store_b128 v112, v[87:90] offset:288
	ds_store_b128 v112, v[91:94] offset:384
	ds_store_b128 v112, v[99:102] offset:480
	ds_store_b128 v112, v[107:110] offset:576
	v_cmpx_gt_u32_e32 36, v0
	s_cbranch_execz .LBB0_50
; %bb.49:
	v_mul_f64_e32 v[13:14], s[12:13], v[13:14]
	v_mul_f64_e32 v[15:16], s[12:13], v[15:16]
	;; [unrolled: 1-line block ×4, first 2 shown]
	v_add_f64_e32 v[19:20], v[31:32], v[19:20]
	v_add_f64_e32 v[17:18], v[29:30], v[17:18]
	;; [unrolled: 1-line block ×4, first 2 shown]
	s_delay_alu instid0(VALU_DEP_4) | instskip(NEXT) | instid1(VALU_DEP_4)
	v_add_f64_e32 v[25:26], v[19:20], v[35:36]
	v_add_f64_e32 v[29:30], v[17:18], v[33:34]
	v_add_f64_e64 v[19:20], v[47:48], -v[37:38]
	v_add_f64_e32 v[17:18], v[39:40], v[41:42]
	v_add_f64_e32 v[21:22], v[21:22], v[13:14]
	;; [unrolled: 1-line block ×4, first 2 shown]
	v_add_f64_e64 v[13:14], v[49:50], -v[45:46]
	s_delay_alu instid0(VALU_DEP_4)
	v_add_f64_e32 v[23:24], v[21:22], v[25:26]
	v_add_f64_e64 v[27:28], v[25:26], -v[21:22]
	v_add_f64_e32 v[25:26], v[31:32], v[29:30]
	v_add_f64_e64 v[21:22], v[29:30], -v[31:32]
	v_lshl_add_u32 v29, v117, 4, v54
	ds_store_b128 v29, v[1:4] offset:14304
	ds_store_b128 v29, v[5:8] offset:14400
	;; [unrolled: 1-line block ×7, first 2 shown]
.LBB0_50:
	s_wait_alu 0xfffe
	s_or_b32 exec_lo, exec_lo, s5
	v_mul_lo_u16 v9, v165, 37
	global_wb scope:SCOPE_SE
	s_wait_dscnt 0x0
	s_barrier_signal -1
	s_barrier_wait -1
	global_inv scope:SCOPE_SE
	v_lshrrev_b16 v14, 8, v9
	s_mov_b32 s12, 0x667f3bcd
	s_mov_b32 s13, 0xbfe6a09e
	;; [unrolled: 1-line block ×3, first 2 shown]
	s_wait_alu 0xfffe
	s_mov_b32 s20, s12
	v_mul_lo_u16 v9, v14, 7
	s_mov_b32 s22, 0xcf328d46
	s_mov_b32 s23, 0xbfed906b
	;; [unrolled: 1-line block ×3, first 2 shown]
	s_wait_alu 0xfffe
	s_mov_b32 s28, s22
	v_sub_nc_u16 v9, v165, v9
	s_mov_b32 s24, 0xa6aea964
	s_mov_b32 s25, 0xbfd87de2
	;; [unrolled: 1-line block ×3, first 2 shown]
	s_wait_alu 0xfffe
	s_mov_b32 s26, s24
	v_and_b32_e32 v13, 0xff, v9
	v_and_b32_e32 v14, 0xffff, v14
	s_mov_b32 s5, exec_lo
	s_delay_alu instid0(VALU_DEP_2) | instskip(NEXT) | instid1(VALU_DEP_2)
	v_mul_u32_u24_e32 v9, 15, v13
	v_mul_u32_u24_e32 v14, 0x70, v14
	s_delay_alu instid0(VALU_DEP_2) | instskip(NEXT) | instid1(VALU_DEP_2)
	v_lshlrev_b32_e32 v15, 4, v9
	v_or_b32_e32 v13, v14, v13
	s_clause 0xe
	global_load_b128 v[9:12], v15, s[2:3]
	global_load_b128 v[17:20], v15, s[2:3] offset:16
	global_load_b128 v[21:24], v15, s[2:3] offset:32
	;; [unrolled: 1-line block ×14, first 2 shown]
	v_mul_u32_u24_e32 v15, 0x60, v165
	v_mul_u32_u24_e32 v13, 0x60, v13
	s_delay_alu instid0(VALU_DEP_2) | instskip(NEXT) | instid1(VALU_DEP_2)
	v_add3_u32 v15, 0, v15, v53
	v_add3_u32 v13, 0, v13, v53
	s_delay_alu instid0(VALU_DEP_2)
	v_add_nc_u32_e32 v16, 0x1800, v15
	v_add_nc_u32_e32 v90, 0x2000, v15
	ds_load_b128 v[74:77], v15 offset:2016
	ds_load_b128 v[78:81], v15 offset:4032
	;; [unrolled: 1-line block ×3, first 2 shown]
	ds_load_2addr_b64 v[86:89], v16 offset0:240 offset1:241
	ds_load_2addr_b64 v[90:93], v90 offset0:236 offset1:237
	ds_load_b128 v[94:97], v15 offset:12096
	ds_load_b128 v[98:101], v15 offset:14112
	;; [unrolled: 1-line block ×10, first 2 shown]
	ds_load_b128 v[142:145], v15
	global_wb scope:SCOPE_SE
	s_wait_loadcnt_dscnt 0x0
	s_barrier_signal -1
	s_barrier_wait -1
	global_inv scope:SCOPE_SE
	v_mul_f64_e32 v[114:115], v[76:77], v[11:12]
	v_mul_f64_e32 v[11:12], v[74:75], v[11:12]
	;; [unrolled: 1-line block ×30, first 2 shown]
	v_fma_f64 v[74:75], v[74:75], v[9:10], -v[114:115]
	v_fma_f64 v[9:10], v[76:77], v[9:10], v[11:12]
	v_fma_f64 v[11:12], v[78:79], v[17:18], -v[134:135]
	v_fma_f64 v[17:18], v[80:81], v[17:18], v[19:20]
	;; [unrolled: 2-line block ×14, first 2 shown]
	v_fma_f64 v[68:69], v[140:141], v[70:71], v[172:173]
	v_fma_f64 v[70:71], v[138:139], v[70:71], -v[72:73]
	v_add_f64_e64 v[39:40], v[142:143], -v[39:40]
	v_add_f64_e64 v[41:42], v[144:145], -v[41:42]
	;; [unrolled: 1-line block ×16, first 2 shown]
	v_fma_f64 v[90:91], v[142:143], 2.0, -v[39:40]
	v_fma_f64 v[92:93], v[144:145], 2.0, -v[41:42]
	v_add_f64_e32 v[76:77], v[41:42], v[43:44]
	v_add_f64_e64 v[72:73], v[39:40], -v[45:46]
	v_fma_f64 v[23:24], v[23:24], 2.0, -v[43:44]
	v_fma_f64 v[25:26], v[25:26], 2.0, -v[45:46]
	v_add_f64_e32 v[80:81], v[49:50], v[51:52]
	v_add_f64_e64 v[78:79], v[47:48], -v[54:55]
	;; [unrolled: 4-line block ×3, first 2 shown]
	v_fma_f64 v[31:32], v[31:32], 2.0, -v[51:52]
	v_fma_f64 v[33:34], v[33:34], 2.0, -v[54:55]
	v_add_f64_e64 v[86:87], v[64:65], -v[68:69]
	v_add_f64_e32 v[88:89], v[66:67], v[70:71]
	v_fma_f64 v[43:44], v[74:75], 2.0, -v[56:57]
	v_fma_f64 v[9:10], v[9:10], 2.0, -v[58:59]
	;; [unrolled: 1-line block ×10, first 2 shown]
	v_add_f64_e64 v[23:24], v[90:91], -v[23:24]
	v_add_f64_e64 v[25:26], v[92:93], -v[25:26]
	v_fma_f64 v[60:61], v[80:81], s[20:21], v[76:77]
	v_fma_f64 v[45:46], v[47:48], 2.0, -v[78:79]
	v_fma_f64 v[47:48], v[49:50], 2.0, -v[80:81]
	;; [unrolled: 1-line block ×4, first 2 shown]
	v_add_f64_e64 v[31:32], v[11:12], -v[31:32]
	v_add_f64_e64 v[33:34], v[17:18], -v[33:34]
	v_fma_f64 v[54:55], v[64:65], 2.0, -v[86:87]
	v_fma_f64 v[56:57], v[66:67], 2.0, -v[88:89]
	v_fma_f64 v[58:59], v[78:79], s[20:21], v[72:73]
	v_fma_f64 v[62:63], v[86:87], s[20:21], v[82:83]
	v_add_f64_e64 v[27:28], v[43:44], -v[27:28]
	v_add_f64_e64 v[29:30], v[9:10], -v[29:30]
	v_fma_f64 v[64:65], v[88:89], s[20:21], v[84:85]
	v_add_f64_e64 v[37:38], v[21:22], -v[37:38]
	v_add_f64_e64 v[35:36], v[19:20], -v[35:36]
	v_fma_f64 v[90:91], v[90:91], 2.0, -v[23:24]
	v_fma_f64 v[92:93], v[92:93], 2.0, -v[25:26]
	v_fma_f64 v[60:61], v[78:79], s[20:21], v[60:61]
	v_fma_f64 v[66:67], v[45:46], s[12:13], v[39:40]
	;; [unrolled: 1-line block ×3, first 2 shown]
	v_fma_f64 v[11:12], v[11:12], 2.0, -v[31:32]
	v_fma_f64 v[17:18], v[17:18], 2.0, -v[33:34]
	v_fma_f64 v[70:71], v[54:55], s[12:13], v[49:50]
	v_fma_f64 v[74:75], v[56:57], s[12:13], v[51:52]
	v_add_f64_e64 v[94:95], v[23:24], -v[33:34]
	v_add_f64_e32 v[96:97], v[25:26], v[31:32]
	v_fma_f64 v[58:59], v[80:81], s[12:13], v[58:59]
	v_fma_f64 v[62:63], v[88:89], s[12:13], v[62:63]
	;; [unrolled: 1-line block ×3, first 2 shown]
	v_fma_f64 v[43:44], v[43:44], 2.0, -v[27:28]
	v_add_f64_e64 v[31:32], v[27:28], -v[37:38]
	v_add_f64_e32 v[33:34], v[29:30], v[35:36]
	v_fma_f64 v[9:10], v[9:10], 2.0, -v[29:30]
	v_fma_f64 v[19:20], v[19:20], 2.0, -v[35:36]
	;; [unrolled: 1-line block ×4, first 2 shown]
	v_fma_f64 v[66:67], v[47:48], s[12:13], v[66:67]
	v_fma_f64 v[68:69], v[45:46], s[20:21], v[68:69]
	;; [unrolled: 1-line block ×4, first 2 shown]
	v_fma_f64 v[70:71], v[23:24], 2.0, -v[94:95]
	v_fma_f64 v[74:75], v[25:26], 2.0, -v[96:97]
	v_add_f64_e64 v[54:55], v[90:91], -v[11:12]
	v_fma_f64 v[72:73], v[72:73], 2.0, -v[58:59]
	v_fma_f64 v[45:46], v[82:83], 2.0, -v[62:63]
	v_add_f64_e64 v[56:57], v[92:93], -v[17:18]
	v_fma_f64 v[27:28], v[27:28], 2.0, -v[31:32]
	v_fma_f64 v[25:26], v[29:30], 2.0, -v[33:34]
	;; [unrolled: 1-line block ×3, first 2 shown]
	v_add_f64_e64 v[23:24], v[43:44], -v[19:20]
	v_add_f64_e64 v[21:22], v[9:10], -v[21:22]
	v_fma_f64 v[11:12], v[31:32], s[20:21], v[94:95]
	v_fma_f64 v[19:20], v[33:34], s[20:21], v[96:97]
	v_fma_f64 v[78:79], v[39:40], 2.0, -v[66:67]
	v_fma_f64 v[80:81], v[41:42], 2.0, -v[68:69]
	v_fma_f64 v[39:40], v[62:63], s[28:29], v[58:59]
	v_fma_f64 v[47:48], v[49:50], 2.0, -v[35:36]
	v_fma_f64 v[41:42], v[51:52], 2.0, -v[37:38]
	v_fma_f64 v[49:50], v[64:65], s[28:29], v[60:61]
	s_wait_alu 0xfffe
	v_fma_f64 v[98:99], v[37:38], s[26:27], v[68:69]
	v_fma_f64 v[82:83], v[90:91], 2.0, -v[54:55]
	v_fma_f64 v[88:89], v[45:46], s[24:25], v[72:73]
	v_fma_f64 v[84:85], v[92:93], 2.0, -v[56:57]
	v_fma_f64 v[51:52], v[27:28], s[12:13], v[70:71]
	v_fma_f64 v[86:87], v[25:26], s[12:13], v[74:75]
	;; [unrolled: 1-line block ×4, first 2 shown]
	v_fma_f64 v[43:44], v[43:44], 2.0, -v[23:24]
	v_fma_f64 v[100:101], v[9:10], 2.0, -v[21:22]
	v_fma_f64 v[17:18], v[33:34], s[12:13], v[11:12]
	v_fma_f64 v[19:20], v[31:32], s[20:21], v[19:20]
	v_add_f64_e64 v[21:22], v[54:55], -v[21:22]
	v_add_f64_e32 v[23:24], v[56:57], v[23:24]
	v_fma_f64 v[9:10], v[64:65], s[24:25], v[39:40]
	v_fma_f64 v[102:103], v[47:48], s[22:23], v[78:79]
	;; [unrolled: 1-line block ×10, first 2 shown]
	v_add_f64_e64 v[37:38], v[82:83], -v[43:44]
	v_add_f64_e64 v[39:40], v[84:85], -v[100:101]
	v_fma_f64 v[45:46], v[94:95], 2.0, -v[17:18]
	s_load_b64 s[12:13], s[0:1], 0x60
	v_fma_f64 v[54:55], v[54:55], 2.0, -v[21:22]
	v_fma_f64 v[56:57], v[56:57], 2.0, -v[23:24]
	;; [unrolled: 1-line block ×3, first 2 shown]
	v_fma_f64 v[41:42], v[41:42], s[24:25], v[102:103]
	v_fma_f64 v[43:44], v[47:48], s[26:27], v[104:105]
	v_fma_f64 v[47:48], v[96:97], 2.0, -v[19:20]
	v_fma_f64 v[51:52], v[60:61], 2.0, -v[11:12]
	v_fma_f64 v[68:69], v[68:69], 2.0, -v[35:36]
	v_fma_f64 v[62:63], v[72:73], 2.0, -v[29:30]
	v_fma_f64 v[58:59], v[70:71], 2.0, -v[25:26]
	v_fma_f64 v[60:61], v[74:75], 2.0, -v[27:28]
	v_fma_f64 v[64:65], v[76:77], 2.0, -v[31:32]
	v_fma_f64 v[66:67], v[66:67], 2.0, -v[33:34]
	v_fma_f64 v[70:71], v[82:83], 2.0, -v[37:38]
	v_fma_f64 v[72:73], v[84:85], 2.0, -v[39:40]
	v_fma_f64 v[74:75], v[78:79], 2.0, -v[41:42]
	v_fma_f64 v[76:77], v[80:81], 2.0, -v[43:44]
	ds_store_b128 v13, v[17:20] offset:9408
	ds_store_b128 v13, v[9:12] offset:10080
	;; [unrolled: 1-line block ×14, first 2 shown]
	ds_store_b128 v13, v[70:73]
	ds_store_b128 v13, v[74:77] offset:672
	global_wb scope:SCOPE_SE
	s_wait_dscnt 0x0
	s_wait_kmcnt 0x0
	s_barrier_signal -1
	s_barrier_wait -1
	global_inv scope:SCOPE_SE
	ds_load_b128 v[57:60], v15
	ds_load_b128 v[69:72], v15 offset:2016
	ds_load_b128 v[77:80], v15 offset:10752
	;; [unrolled: 1-line block ×9, first 2 shown]
	ds_load_2addr_b64 v[61:64], v16 offset0:240 offset1:241
	ds_load_b128 v[81:84], v15 offset:21504
	ds_load_b128 v[97:100], v15 offset:18816
	;; [unrolled: 1-line block ×4, first 2 shown]
	v_cmpx_gt_u32_e32 42, v0
	s_cbranch_execz .LBB0_52
; %bb.51:
	v_add_nc_u32_e32 v1, 0x2760, v15
	ds_load_2addr_b64 v[9:12], v1 offset1:1
	ds_load_b128 v[1:4], v15 offset:20832
	ds_load_b128 v[5:8], v15 offset:31584
.LBB0_52:
	s_or_b32 exec_lo, exec_lo, s5
	v_add_nc_u32_e32 v240, 0x69, v165
	v_mad_co_u64_u32 v[138:139], null, s6, v117, 0
	s_load_b64 s[0:1], s[0:1], 0x8
	s_mul_u64 s[18:19], s[6:7], s[18:19]
	s_delay_alu instid0(VALU_DEP_2) | instskip(SKIP_1) | instid1(VALU_DEP_2)
	v_mul_u32_u24_e32 v13, 0x24a, v240
	s_mul_u64 s[8:9], s[8:9], s[14:15]
	v_mov_b32_e32 v118, v139
	s_delay_alu instid0(VALU_DEP_2) | instskip(NEXT) | instid1(VALU_DEP_1)
	v_lshrrev_b32_e32 v119, 16, v13
	v_mul_lo_u16 v13, 0x70, v119
	s_delay_alu instid0(VALU_DEP_3)
	v_mad_co_u64_u32 v[117:118], null, s7, v117, v[118:119]
	s_wait_alu 0xfffe
	s_add_nc_u64 s[6:7], s[8:9], s[18:19]
	s_mul_u64 s[8:9], s[10:11], s[16:17]
	v_sub_nc_u16 v13, v240, v13
	s_wait_alu 0xfffe
	s_add_nc_u64 s[6:7], s[8:9], s[6:7]
	s_delay_alu instid0(VALU_DEP_1) | instskip(NEXT) | instid1(VALU_DEP_1)
	v_and_b32_e32 v13, 0xffff, v13
	v_mul_lo_u32 v14, v137, v13
	v_add_nc_u32_e32 v15, 0x70, v13
	v_add_nc_u32_e32 v16, 0xe0, v13
	v_lshlrev_b32_e32 v13, 5, v13
	s_clause 0x1
	global_load_b128 v[25:28], v13, s[2:3] offset:1696
	global_load_b128 v[29:32], v13, s[2:3] offset:1680
	v_mul_lo_u32 v15, v137, v15
	v_mul_lo_u32 v16, v137, v16
	v_and_b32_e32 v17, 0xff, v14
	v_lshrrev_b32_e32 v18, 4, v14
	v_lshrrev_b32_e32 v14, 12, v14
	s_delay_alu instid0(VALU_DEP_3) | instskip(NEXT) | instid1(VALU_DEP_3)
	v_lshlrev_b32_e32 v13, 4, v17
	v_and_b32_e32 v17, 0xff0, v18
	v_and_b32_e32 v18, 0xff, v15
	v_lshrrev_b32_e32 v19, 4, v15
	v_lshrrev_b32_e32 v15, 12, v15
	v_and_b32_e32 v20, 0xff, v16
	v_lshrrev_b32_e32 v21, 4, v16
	v_lshrrev_b32_e32 v16, 12, v16
	v_and_b32_e32 v14, 0xff0, v14
	s_wait_kmcnt 0x0
	s_clause 0x1
	global_load_b128 v[33:36], v13, s[0:1]
	global_load_b128 v[37:40], v17, s[0:1] offset:4096
	v_lshlrev_b32_e32 v17, 4, v18
	v_and_b32_e32 v18, 0xff0, v19
	v_and_b32_e32 v19, 0xff0, v15
	v_lshlrev_b32_e32 v22, 4, v20
	v_and_b32_e32 v21, 0xff0, v21
	v_and_b32_e32 v23, 0xff0, v16
	s_clause 0x6
	global_load_b128 v[13:16], v14, s[0:1] offset:8192
	global_load_b128 v[41:44], v17, s[0:1]
	global_load_b128 v[45:48], v18, s[0:1] offset:4096
	global_load_b128 v[17:20], v19, s[0:1] offset:8192
	global_load_b128 v[49:52], v22, s[0:1]
	global_load_b128 v[53:56], v21, s[0:1] offset:4096
	global_load_b128 v[21:24], v23, s[0:1] offset:8192
	s_and_saveexec_b32 s5, s31
	s_cbranch_execz .LBB0_54
; %bb.53:
	v_dual_mov_b32 v140, 0 :: v_dual_add_nc_u32 v117, 0xffffffba, v165
	v_cmp_gt_u32_e32 vcc_lo, 0x1a4, v0
	scratch_store_b32 off, v119, off        ; 4-byte Folded Spill
	v_add_nc_u32_e32 v243, 0x54, v165
	v_add_nc_u32_e32 v245, 63, v165
	s_wait_alu 0xfffd
	v_cndmask_b32_e32 v125, v117, v255, vcc_lo
	s_delay_alu instid0(VALU_DEP_1) | instskip(NEXT) | instid1(VALU_DEP_1)
	v_lshlrev_b32_e32 v139, 1, v125
	v_lshlrev_b64_e32 v[117:118], 4, v[139:140]
	s_delay_alu instid0(VALU_DEP_1) | instskip(SKIP_1) | instid1(VALU_DEP_2)
	v_add_co_u32 v121, vcc_lo, s2, v117
	s_wait_alu 0xfffd
	v_add_co_ci_u32_e32 v122, vcc_lo, s3, v118, vcc_lo
	v_cmp_gt_u32_e32 vcc_lo, 0x222, v0
	s_clause 0x1
	global_load_b128 v[117:120], v[121:122], off offset:1680
	global_load_b128 v[121:124], v[121:122], off offset:1696
	s_wait_loadcnt_dscnt 0x106
	v_mul_f64_e32 v[126:127], v[115:116], v[119:120]
	s_delay_alu instid0(VALU_DEP_1) | instskip(SKIP_1) | instid1(VALU_DEP_1)
	v_fma_f64 v[141:142], v[113:114], v[117:118], -v[126:127]
	v_mul_f64_e32 v[113:114], v[113:114], v[119:120]
	v_fma_f64 v[143:144], v[115:116], v[117:118], v[113:114]
	s_wait_loadcnt 0x0
	v_mul_f64_e32 v[113:114], v[111:112], v[123:124]
	s_delay_alu instid0(VALU_DEP_1) | instskip(SKIP_1) | instid1(VALU_DEP_1)
	v_fma_f64 v[145:146], v[109:110], v[121:122], -v[113:114]
	v_mul_f64_e32 v[109:110], v[109:110], v[123:124]
	v_fma_f64 v[147:148], v[111:112], v[121:122], v[109:110]
	v_mul_lo_u32 v109, v137, v125
	s_delay_alu instid0(VALU_DEP_1) | instskip(SKIP_2) | instid1(VALU_DEP_3)
	v_lshrrev_b32_e32 v110, 4, v109
	v_and_b32_e32 v111, 0xff, v109
	v_lshrrev_b32_e32 v109, 12, v109
	v_and_b32_e32 v110, 0xff0, v110
	s_delay_alu instid0(VALU_DEP_3) | instskip(NEXT) | instid1(VALU_DEP_3)
	v_lshlrev_b32_e32 v113, 4, v111
	v_and_b32_e32 v117, 0xff0, v109
	s_clause 0x2
	global_load_b128 v[109:112], v110, s[0:1] offset:4096
	global_load_b128 v[113:116], v113, s[0:1]
	global_load_b128 v[129:132], v117, s[0:1] offset:8192
	s_wait_loadcnt 0x1
	v_mul_f64_e32 v[117:118], v[115:116], v[111:112]
	v_mul_f64_e32 v[111:112], v[113:114], v[111:112]
	s_delay_alu instid0(VALU_DEP_2) | instskip(NEXT) | instid1(VALU_DEP_2)
	v_fma_f64 v[235:236], v[113:114], v[109:110], -v[117:118]
	v_fma_f64 v[215:216], v[115:116], v[109:110], v[111:112]
	v_add_nc_u32_e32 v109, 0xffffffa5, v165
	s_wait_alu 0xfffd
	s_delay_alu instid0(VALU_DEP_1) | instskip(SKIP_1) | instid1(VALU_DEP_2)
	v_cndmask_b32_e32 v128, v109, v239, vcc_lo
	v_cmp_gt_u32_e32 vcc_lo, 0x2a0, v0
	v_mul_lo_u32 v109, v137, v128
	v_lshlrev_b32_e32 v139, 1, v128
	s_delay_alu instid0(VALU_DEP_2) | instskip(SKIP_2) | instid1(VALU_DEP_3)
	v_lshrrev_b32_e32 v110, 4, v109
	v_and_b32_e32 v111, 0xff, v109
	v_lshrrev_b32_e32 v109, 12, v109
	v_and_b32_e32 v110, 0xff0, v110
	s_delay_alu instid0(VALU_DEP_3) | instskip(NEXT) | instid1(VALU_DEP_3)
	v_lshlrev_b32_e32 v113, 4, v111
	v_and_b32_e32 v117, 0xff0, v109
	s_clause 0x2
	global_load_b128 v[109:112], v110, s[0:1] offset:4096
	global_load_b128 v[113:116], v113, s[0:1]
	global_load_b128 v[117:120], v117, s[0:1] offset:8192
	s_wait_loadcnt 0x1
	v_mul_f64_e32 v[121:122], v[115:116], v[111:112]
	v_mul_f64_e32 v[111:112], v[113:114], v[111:112]
	s_delay_alu instid0(VALU_DEP_2) | instskip(NEXT) | instid1(VALU_DEP_2)
	v_fma_f64 v[205:206], v[113:114], v[109:110], -v[121:122]
	v_fma_f64 v[191:192], v[115:116], v[109:110], v[111:112]
	v_add_nc_u32_e32 v109, 0xffffff90, v165
	s_wait_alu 0xfffd
	s_delay_alu instid0(VALU_DEP_1) | instskip(NEXT) | instid1(VALU_DEP_1)
	v_cndmask_b32_e32 v242, v109, v165, vcc_lo
	v_mul_lo_u32 v109, v137, v242
	s_delay_alu instid0(VALU_DEP_1) | instskip(SKIP_2) | instid1(VALU_DEP_3)
	v_lshrrev_b32_e32 v110, 4, v109
	v_and_b32_e32 v111, 0xff, v109
	v_lshrrev_b32_e32 v109, 12, v109
	v_and_b32_e32 v110, 0xff0, v110
	s_delay_alu instid0(VALU_DEP_3) | instskip(NEXT) | instid1(VALU_DEP_3)
	v_lshlrev_b32_e32 v113, 4, v111
	v_and_b32_e32 v121, 0xff0, v109
	s_clause 0x2
	global_load_b128 v[109:112], v110, s[0:1] offset:4096
	global_load_b128 v[113:116], v113, s[0:1]
	global_load_b128 v[121:124], v121, s[0:1] offset:8192
	s_wait_loadcnt 0x1
	v_mul_f64_e32 v[126:127], v[115:116], v[111:112]
	v_mul_f64_e32 v[111:112], v[113:114], v[111:112]
	s_delay_alu instid0(VALU_DEP_2) | instskip(NEXT) | instid1(VALU_DEP_2)
	v_fma_f64 v[197:198], v[113:114], v[109:110], -v[126:127]
	v_fma_f64 v[199:200], v[109:110], v[115:116], v[111:112]
	v_lshlrev_b64_e32 v[109:110], 4, v[139:140]
	s_delay_alu instid0(VALU_DEP_1) | instskip(SKIP_1) | instid1(VALU_DEP_2)
	v_add_co_u32 v113, vcc_lo, s2, v109
	s_wait_alu 0xfffd
	v_add_co_ci_u32_e32 v114, vcc_lo, s3, v110, vcc_lo
	s_clause 0x1
	global_load_b128 v[109:112], v[113:114], off offset:1680
	global_load_b128 v[113:116], v[113:114], off offset:1696
	s_wait_loadcnt 0x1
	v_mul_f64_e32 v[126:127], v[107:108], v[111:112]
	s_delay_alu instid0(VALU_DEP_1) | instskip(SKIP_1) | instid1(VALU_DEP_1)
	v_fma_f64 v[149:150], v[105:106], v[109:110], -v[126:127]
	v_mul_f64_e32 v[105:106], v[105:106], v[111:112]
	v_fma_f64 v[151:152], v[107:108], v[109:110], v[105:106]
	s_wait_loadcnt 0x0
	v_mul_f64_e32 v[105:106], v[103:104], v[115:116]
	s_delay_alu instid0(VALU_DEP_1) | instskip(SKIP_1) | instid1(VALU_DEP_1)
	v_fma_f64 v[153:154], v[101:102], v[113:114], -v[105:106]
	v_mul_f64_e32 v[101:102], v[101:102], v[115:116]
	v_fma_f64 v[155:156], v[103:104], v[113:114], v[101:102]
	v_add_nc_u32_e32 v101, 0xe0, v125
	v_add_nc_u32_e32 v102, 0x70, v125
	s_delay_alu instid0(VALU_DEP_2) | instskip(NEXT) | instid1(VALU_DEP_2)
	v_mul_lo_u32 v101, v137, v101
	v_mul_lo_u32 v115, v137, v102
	s_delay_alu instid0(VALU_DEP_2) | instskip(SKIP_2) | instid1(VALU_DEP_3)
	v_and_b32_e32 v102, 0xff, v101
	v_lshrrev_b32_e32 v103, 4, v101
	v_lshrrev_b32_e32 v101, 12, v101
	v_lshlrev_b32_e32 v105, 4, v102
	s_delay_alu instid0(VALU_DEP_3) | instskip(NEXT) | instid1(VALU_DEP_3)
	v_and_b32_e32 v102, 0xff0, v103
	v_and_b32_e32 v106, 0xff0, v101
	v_lshrrev_b32_e32 v101, 12, v115
	s_delay_alu instid0(VALU_DEP_1)
	v_and_b32_e32 v107, 0xff0, v101
	s_clause 0x3
	global_load_b128 v[101:104], v102, s[0:1] offset:4096
	global_load_b128 v[109:112], v105, s[0:1]
	global_load_b128 v[133:136], v106, s[0:1] offset:8192
	global_load_b128 v[105:108], v107, s[0:1] offset:8192
	s_wait_loadcnt 0x2
	v_mul_f64_e32 v[113:114], v[111:112], v[103:104]
	v_mul_f64_e32 v[103:104], v[109:110], v[103:104]
	s_delay_alu instid0(VALU_DEP_2) | instskip(NEXT) | instid1(VALU_DEP_2)
	v_fma_f64 v[223:224], v[109:110], v[101:102], -v[113:114]
	v_fma_f64 v[225:226], v[111:112], v[101:102], v[103:104]
	v_and_b32_e32 v101, 0xff, v115
	v_lshrrev_b32_e32 v102, 4, v115
	s_delay_alu instid0(VALU_DEP_2) | instskip(NEXT) | instid1(VALU_DEP_2)
	v_lshlrev_b32_e32 v101, 4, v101
	v_and_b32_e32 v109, 0xff0, v102
	s_clause 0x1
	global_load_b128 v[101:104], v101, s[0:1]
	global_load_b128 v[109:112], v109, s[0:1] offset:4096
	s_wait_loadcnt 0x0
	v_mul_f64_e32 v[113:114], v[103:104], v[111:112]
	s_delay_alu instid0(VALU_DEP_1) | instskip(SKIP_1) | instid1(VALU_DEP_1)
	v_fma_f64 v[185:186], v[101:102], v[109:110], -v[113:114]
	v_mul_f64_e32 v[101:102], v[101:102], v[111:112]
	v_fma_f64 v[187:188], v[103:104], v[109:110], v[101:102]
	v_add_nc_u32_e32 v101, 0xe0, v128
	v_add_nc_u32_e32 v102, 0x70, v128
	s_delay_alu instid0(VALU_DEP_2) | instskip(NEXT) | instid1(VALU_DEP_2)
	v_mul_lo_u32 v101, v137, v101
	v_mul_lo_u32 v139, v137, v102
	s_delay_alu instid0(VALU_DEP_2) | instskip(SKIP_2) | instid1(VALU_DEP_3)
	v_and_b32_e32 v102, 0xff, v101
	v_lshrrev_b32_e32 v103, 4, v101
	v_lshrrev_b32_e32 v101, 12, v101
	v_lshlrev_b32_e32 v109, 4, v102
	s_delay_alu instid0(VALU_DEP_3) | instskip(NEXT) | instid1(VALU_DEP_3)
	v_and_b32_e32 v102, 0xff0, v103
	v_and_b32_e32 v110, 0xff0, v101
	v_lshrrev_b32_e32 v101, 12, v139
	s_delay_alu instid0(VALU_DEP_1)
	v_and_b32_e32 v111, 0xff0, v101
	s_clause 0x3
	global_load_b128 v[101:104], v102, s[0:1] offset:4096
	global_load_b128 v[125:128], v109, s[0:1]
	global_load_b128 v[113:116], v110, s[0:1] offset:8192
	global_load_b128 v[109:112], v111, s[0:1] offset:8192
	s_wait_loadcnt 0x2
	v_mul_f64_e32 v[157:158], v[127:128], v[103:104]
	v_mul_f64_e32 v[103:104], v[125:126], v[103:104]
	s_delay_alu instid0(VALU_DEP_2) | instskip(NEXT) | instid1(VALU_DEP_2)
	v_fma_f64 v[203:204], v[125:126], v[101:102], -v[157:158]
	v_fma_f64 v[201:202], v[127:128], v[101:102], v[103:104]
	v_and_b32_e32 v101, 0xff, v139
	v_lshrrev_b32_e32 v102, 4, v139
	s_delay_alu instid0(VALU_DEP_2) | instskip(NEXT) | instid1(VALU_DEP_2)
	v_lshlrev_b32_e32 v101, 4, v101
	v_and_b32_e32 v125, 0xff0, v102
	s_clause 0x1
	global_load_b128 v[101:104], v101, s[0:1]
	global_load_b128 v[125:128], v125, s[0:1] offset:4096
	s_wait_loadcnt 0x0
	v_mul_f64_e32 v[157:158], v[103:104], v[127:128]
	s_delay_alu instid0(VALU_DEP_1) | instskip(SKIP_1) | instid1(VALU_DEP_1)
	v_fma_f64 v[195:196], v[101:102], v[125:126], -v[157:158]
	v_mul_f64_e32 v[101:102], v[101:102], v[127:128]
	v_fma_f64 v[193:194], v[103:104], v[125:126], v[101:102]
	v_add_nc_u32_e32 v101, 0xe0, v242
	v_add_nc_u32_e32 v102, 0x70, v242
	s_delay_alu instid0(VALU_DEP_2) | instskip(NEXT) | instid1(VALU_DEP_2)
	v_mul_lo_u32 v101, v137, v101
	v_mul_lo_u32 v139, v137, v102
	s_delay_alu instid0(VALU_DEP_2) | instskip(SKIP_2) | instid1(VALU_DEP_4)
	v_lshrrev_b32_e32 v103, 4, v101
	v_and_b32_e32 v102, 0xff, v101
	v_lshrrev_b32_e32 v101, 12, v101
	v_lshrrev_b32_e32 v104, 12, v139
	s_delay_alu instid0(VALU_DEP_4) | instskip(NEXT) | instid1(VALU_DEP_4)
	v_and_b32_e32 v103, 0xff0, v103
	v_lshlrev_b32_e32 v102, 4, v102
	s_delay_alu instid0(VALU_DEP_4) | instskip(NEXT) | instid1(VALU_DEP_4)
	v_and_b32_e32 v101, 0xff0, v101
	v_and_b32_e32 v104, 0xff0, v104
	s_clause 0x3
	global_load_b128 v[157:160], v103, s[0:1] offset:4096
	global_load_b128 v[161:164], v102, s[0:1]
	global_load_b128 v[125:128], v101, s[0:1] offset:8192
	global_load_b128 v[101:104], v104, s[0:1] offset:8192
	s_wait_loadcnt 0x2
	v_mul_f64_e32 v[166:167], v[163:164], v[159:160]
	v_mul_f64_e32 v[159:160], v[161:162], v[159:160]
	s_delay_alu instid0(VALU_DEP_2) | instskip(NEXT) | instid1(VALU_DEP_2)
	v_fma_f64 v[207:208], v[161:162], v[157:158], -v[166:167]
	v_fma_f64 v[209:210], v[163:164], v[157:158], v[159:160]
	v_and_b32_e32 v157, 0xff, v139
	v_lshrrev_b32_e32 v139, 4, v139
	s_delay_alu instid0(VALU_DEP_2) | instskip(NEXT) | instid1(VALU_DEP_2)
	v_lshlrev_b32_e32 v157, 4, v157
	v_and_b32_e32 v139, 0xff0, v139
	s_clause 0x1
	global_load_b128 v[157:160], v157, s[0:1]
	global_load_b128 v[161:164], v139, s[0:1] offset:4096
	v_mul_lo_u16 v139, 0x93, v243
	s_delay_alu instid0(VALU_DEP_1) | instskip(NEXT) | instid1(VALU_DEP_1)
	v_lshrrev_b16 v244, 14, v139
	v_mul_lo_u16 v139, 0x70, v244
	s_delay_alu instid0(VALU_DEP_1) | instskip(NEXT) | instid1(VALU_DEP_1)
	v_sub_nc_u16 v139, v243, v139
	v_and_b32_e32 v211, 0xff, v139
	s_delay_alu instid0(VALU_DEP_1) | instskip(SKIP_2) | instid1(VALU_DEP_1)
	v_lshlrev_b32_e32 v139, 5, v211
	s_wait_loadcnt 0x0
	v_mul_f64_e32 v[166:167], v[159:160], v[163:164]
	v_fma_f64 v[181:182], v[157:158], v[161:162], -v[166:167]
	v_mul_f64_e32 v[157:158], v[157:158], v[163:164]
	s_delay_alu instid0(VALU_DEP_1)
	v_fma_f64 v[183:184], v[159:160], v[161:162], v[157:158]
	s_clause 0x1
	global_load_b128 v[159:162], v139, s[2:3] offset:1680
	global_load_b128 v[166:169], v139, s[2:3] offset:1696
	v_lshlrev_b32_e32 v139, 1, v242
	s_wait_loadcnt_dscnt 0x102
	v_mul_f64_e32 v[157:158], v[99:100], v[161:162]
	s_delay_alu instid0(VALU_DEP_1) | instskip(SKIP_1) | instid1(VALU_DEP_1)
	v_fma_f64 v[157:158], v[97:98], v[159:160], -v[157:158]
	v_mul_f64_e32 v[97:98], v[97:98], v[161:162]
	v_fma_f64 v[159:160], v[99:100], v[159:160], v[97:98]
	s_wait_loadcnt_dscnt 0x0
	v_mul_f64_e32 v[97:98], v[95:96], v[168:169]
	s_delay_alu instid0(VALU_DEP_1) | instskip(SKIP_1) | instid1(VALU_DEP_1)
	v_fma_f64 v[161:162], v[93:94], v[166:167], -v[97:98]
	v_mul_f64_e32 v[93:94], v[93:94], v[168:169]
	v_fma_f64 v[163:164], v[95:96], v[166:167], v[93:94]
	v_mul_lo_u16 v93, 0x93, v245
	s_delay_alu instid0(VALU_DEP_1) | instskip(NEXT) | instid1(VALU_DEP_1)
	v_lshrrev_b16 v246, 14, v93
	v_mul_lo_u16 v93, 0x70, v246
	s_delay_alu instid0(VALU_DEP_1) | instskip(NEXT) | instid1(VALU_DEP_1)
	v_sub_nc_u16 v93, v245, v93
	v_and_b32_e32 v227, 0xff, v93
	s_delay_alu instid0(VALU_DEP_1)
	v_lshlrev_b32_e32 v97, 5, v227
	s_clause 0x1
	global_load_b128 v[93:96], v97, s[2:3] offset:1680
	global_load_b128 v[97:100], v97, s[2:3] offset:1696
	s_wait_loadcnt 0x1
	v_mul_f64_e32 v[165:166], v[87:88], v[95:96]
	s_delay_alu instid0(VALU_DEP_1) | instskip(SKIP_1) | instid1(VALU_DEP_1)
	v_fma_f64 v[173:174], v[85:86], v[93:94], -v[165:166]
	v_mul_f64_e32 v[85:86], v[85:86], v[95:96]
	v_fma_f64 v[175:176], v[87:88], v[93:94], v[85:86]
	s_wait_loadcnt 0x0
	v_mul_f64_e32 v[85:86], v[91:92], v[99:100]
	s_delay_alu instid0(VALU_DEP_1) | instskip(SKIP_1) | instid1(VALU_DEP_1)
	v_fma_f64 v[177:178], v[89:90], v[97:98], -v[85:86]
	v_mul_f64_e32 v[85:86], v[89:90], v[99:100]
	v_fma_f64 v[179:180], v[91:92], v[97:98], v[85:86]
	v_lshlrev_b64_e32 v[85:86], 4, v[139:140]
	s_delay_alu instid0(VALU_DEP_1) | instskip(SKIP_1) | instid1(VALU_DEP_2)
	v_add_co_u32 v89, vcc_lo, s2, v85
	s_wait_alu 0xfffd
	v_add_co_ci_u32_e32 v90, vcc_lo, s3, v86, vcc_lo
	s_clause 0x1
	global_load_b128 v[85:88], v[89:90], off offset:1680
	global_load_b128 v[89:92], v[89:90], off offset:1696
	s_mov_b32 s3, 0xbfebb67a
	v_cmp_lt_u32_e32 vcc_lo, 0x29f, v0
	s_wait_loadcnt 0x1
	v_mul_f64_e32 v[93:94], v[79:80], v[87:88]
	s_delay_alu instid0(VALU_DEP_1) | instskip(SKIP_1) | instid1(VALU_DEP_1)
	v_fma_f64 v[165:166], v[77:78], v[85:86], -v[93:94]
	v_mul_f64_e32 v[77:78], v[77:78], v[87:88]
	v_fma_f64 v[167:168], v[79:80], v[85:86], v[77:78]
	s_wait_loadcnt 0x0
	v_mul_f64_e32 v[77:78], v[83:84], v[91:92]
	s_delay_alu instid0(VALU_DEP_1) | instskip(SKIP_1) | instid1(VALU_DEP_1)
	v_fma_f64 v[169:170], v[81:82], v[89:90], -v[77:78]
	v_mul_f64_e32 v[77:78], v[81:82], v[91:92]
	v_fma_f64 v[171:172], v[83:84], v[89:90], v[77:78]
	v_mul_lo_u32 v77, v137, v211
	s_delay_alu instid0(VALU_DEP_1) | instskip(SKIP_2) | instid1(VALU_DEP_3)
	v_lshrrev_b32_e32 v78, 4, v77
	v_and_b32_e32 v79, 0xff, v77
	v_lshrrev_b32_e32 v77, 12, v77
	v_and_b32_e32 v78, 0xff0, v78
	s_delay_alu instid0(VALU_DEP_3) | instskip(NEXT) | instid1(VALU_DEP_3)
	v_lshlrev_b32_e32 v79, 4, v79
	v_and_b32_e32 v77, 0xff0, v77
	s_clause 0x2
	global_load_b128 v[81:84], v78, s[0:1] offset:4096
	global_load_b128 v[85:88], v79, s[0:1]
	global_load_b128 v[77:80], v77, s[0:1] offset:8192
	s_wait_loadcnt 0x1
	v_mul_f64_e32 v[89:90], v[87:88], v[83:84]
	v_mul_f64_e32 v[83:84], v[85:86], v[83:84]
	s_delay_alu instid0(VALU_DEP_2) | instskip(NEXT) | instid1(VALU_DEP_2)
	v_fma_f64 v[189:190], v[85:86], v[81:82], -v[89:90]
	v_fma_f64 v[221:222], v[87:88], v[81:82], v[83:84]
	v_mul_lo_u32 v81, v137, v227
	s_delay_alu instid0(VALU_DEP_1) | instskip(SKIP_2) | instid1(VALU_DEP_3)
	v_lshrrev_b32_e32 v82, 4, v81
	v_and_b32_e32 v83, 0xff, v81
	v_lshrrev_b32_e32 v81, 12, v81
	v_and_b32_e32 v82, 0xff0, v82
	s_delay_alu instid0(VALU_DEP_3) | instskip(NEXT) | instid1(VALU_DEP_3)
	v_lshlrev_b32_e32 v85, 4, v83
	v_and_b32_e32 v89, 0xff0, v81
	s_clause 0x2
	global_load_b128 v[81:84], v82, s[0:1] offset:4096
	global_load_b128 v[85:88], v85, s[0:1]
	global_load_b128 v[97:100], v89, s[0:1] offset:8192
	s_wait_loadcnt 0x1
	v_mul_f64_e32 v[89:90], v[87:88], v[83:84]
	v_mul_f64_e32 v[83:84], v[85:86], v[83:84]
	s_delay_alu instid0(VALU_DEP_2) | instskip(NEXT) | instid1(VALU_DEP_2)
	v_fma_f64 v[229:230], v[85:86], v[81:82], -v[89:90]
	v_fma_f64 v[233:234], v[87:88], v[81:82], v[83:84]
	v_add_nc_u32_e32 v81, 0xe0, v211
	v_add_nc_u32_e32 v82, 0x70, v211
	s_delay_alu instid0(VALU_DEP_2) | instskip(NEXT) | instid1(VALU_DEP_2)
	v_mul_lo_u32 v81, v137, v81
	v_mul_lo_u32 v139, v137, v82
	s_delay_alu instid0(VALU_DEP_2) | instskip(SKIP_2) | instid1(VALU_DEP_4)
	v_lshrrev_b32_e32 v83, 4, v81
	v_and_b32_e32 v82, 0xff, v81
	v_lshrrev_b32_e32 v81, 12, v81
	v_lshrrev_b32_e32 v84, 12, v139
	s_delay_alu instid0(VALU_DEP_4) | instskip(NEXT) | instid1(VALU_DEP_4)
	v_and_b32_e32 v83, 0xff0, v83
	v_lshlrev_b32_e32 v82, 4, v82
	s_delay_alu instid0(VALU_DEP_4) | instskip(NEXT) | instid1(VALU_DEP_4)
	v_and_b32_e32 v81, 0xff0, v81
	v_and_b32_e32 v84, 0xff0, v84
	s_clause 0x3
	global_load_b128 v[89:92], v83, s[0:1] offset:4096
	global_load_b128 v[93:96], v82, s[0:1]
	global_load_b128 v[85:88], v81, s[0:1] offset:8192
	global_load_b128 v[81:84], v84, s[0:1] offset:8192
	s_wait_loadcnt 0x2
	v_mul_f64_e32 v[211:212], v[95:96], v[91:92]
	v_mul_f64_e32 v[91:92], v[93:94], v[91:92]
	s_delay_alu instid0(VALU_DEP_2) | instskip(NEXT) | instid1(VALU_DEP_2)
	v_fma_f64 v[211:212], v[93:94], v[89:90], -v[211:212]
	v_fma_f64 v[213:214], v[95:96], v[89:90], v[91:92]
	v_and_b32_e32 v89, 0xff, v139
	v_lshrrev_b32_e32 v90, 4, v139
	s_delay_alu instid0(VALU_DEP_2) | instskip(NEXT) | instid1(VALU_DEP_2)
	v_lshlrev_b32_e32 v89, 4, v89
	v_and_b32_e32 v93, 0xff0, v90
	s_clause 0x1
	global_load_b128 v[89:92], v89, s[0:1]
	global_load_b128 v[93:96], v93, s[0:1] offset:4096
	s_wait_loadcnt 0x0
	v_mul_f64_e32 v[217:218], v[91:92], v[95:96]
	s_delay_alu instid0(VALU_DEP_1) | instskip(SKIP_1) | instid1(VALU_DEP_1)
	v_fma_f64 v[217:218], v[89:90], v[93:94], -v[217:218]
	v_mul_f64_e32 v[89:90], v[89:90], v[95:96]
	v_fma_f64 v[219:220], v[91:92], v[93:94], v[89:90]
	v_add_nc_u32_e32 v89, 0xe0, v227
	v_add_nc_u32_e32 v90, 0x70, v227
	s_delay_alu instid0(VALU_DEP_2) | instskip(NEXT) | instid1(VALU_DEP_2)
	v_mul_lo_u32 v89, v137, v89
	v_mul_lo_u32 v137, v137, v90
	s_delay_alu instid0(VALU_DEP_2) | instskip(SKIP_2) | instid1(VALU_DEP_4)
	v_lshrrev_b32_e32 v91, 4, v89
	v_and_b32_e32 v90, 0xff, v89
	v_lshrrev_b32_e32 v89, 12, v89
	v_lshrrev_b32_e32 v92, 12, v137
	v_and_b32_e32 v139, 0xff, v137
	v_and_b32_e32 v91, 0xff0, v91
	v_lshlrev_b32_e32 v90, 4, v90
	v_and_b32_e32 v89, 0xff0, v89
	v_and_b32_e32 v92, 0xff0, v92
	s_clause 0x3
	global_load_b128 v[247:250], v91, s[0:1] offset:4096
	global_load_b128 v[251:254], v90, s[0:1]
	global_load_b128 v[93:96], v89, s[0:1] offset:8192
	global_load_b128 v[89:92], v92, s[0:1] offset:8192
	v_lshrrev_b32_e32 v137, 4, v137
	v_lshlrev_b32_e32 v139, 4, v139
	s_delay_alu instid0(VALU_DEP_2) | instskip(SKIP_3) | instid1(VALU_DEP_2)
	v_and_b32_e32 v137, 0xff0, v137
	s_wait_loadcnt 0x2
	v_mul_f64_e32 v[227:228], v[253:254], v[249:250]
	v_mul_f64_e32 v[231:232], v[251:252], v[249:250]
	v_fma_f64 v[227:228], v[251:252], v[247:248], -v[227:228]
	s_delay_alu instid0(VALU_DEP_2)
	v_fma_f64 v[231:232], v[253:254], v[247:248], v[231:232]
	s_clause 0x1
	global_load_b128 v[247:250], v139, s[0:1]
	global_load_b128 v[251:254], v137, s[0:1] offset:4096
	s_mov_b32 s0, 0xe8584caa
	s_mov_b32 s1, 0x3febb67a
	;; [unrolled: 1-line block ×3, first 2 shown]
	s_wait_loadcnt 0x0
	v_mul_f64_e32 v[237:238], v[249:250], v[253:254]
	s_delay_alu instid0(VALU_DEP_1) | instskip(SKIP_1) | instid1(VALU_DEP_1)
	v_fma_f64 v[237:238], v[247:248], v[251:252], -v[237:238]
	v_mul_f64_e32 v[247:248], v[247:248], v[253:254]
	v_fma_f64 v[247:248], v[249:250], v[251:252], v[247:248]
	v_mul_f64_e32 v[249:250], v[215:216], v[131:132]
	v_mul_f64_e32 v[131:132], v[235:236], v[131:132]
	s_delay_alu instid0(VALU_DEP_2) | instskip(NEXT) | instid1(VALU_DEP_2)
	v_fma_f64 v[249:250], v[129:130], v[235:236], -v[249:250]
	v_fma_f64 v[129:130], v[129:130], v[215:216], v[131:132]
	v_mul_f64_e32 v[131:132], v[191:192], v[119:120]
	v_mul_f64_e32 v[119:120], v[205:206], v[119:120]
	s_delay_alu instid0(VALU_DEP_2) | instskip(NEXT) | instid1(VALU_DEP_2)
	v_fma_f64 v[131:132], v[117:118], v[205:206], -v[131:132]
	;; [unrolled: 5-line block ×7, first 2 shown]
	v_fma_f64 v[109:110], v[109:110], v[193:194], v[111:112]
	v_mul_f64_e32 v[111:112], v[209:210], v[127:128]
	s_delay_alu instid0(VALU_DEP_1) | instskip(SKIP_1) | instid1(VALU_DEP_1)
	v_fma_f64 v[185:186], v[125:126], v[207:208], -v[111:112]
	v_mul_f64_e32 v[111:112], v[207:208], v[127:128]
	v_fma_f64 v[125:126], v[125:126], v[209:210], v[111:112]
	v_mul_f64_e32 v[111:112], v[181:182], v[103:104]
	v_mul_f64_e32 v[103:104], v[183:184], v[103:104]
	s_delay_alu instid0(VALU_DEP_2) | instskip(NEXT) | instid1(VALU_DEP_2)
	v_fma_f64 v[127:128], v[101:102], v[183:184], v[111:112]
	v_fma_f64 v[181:182], v[101:102], v[181:182], -v[103:104]
	v_mul_f64_e32 v[101:102], v[229:230], v[99:100]
	v_mul_f64_e32 v[99:100], v[233:234], v[99:100]
	s_delay_alu instid0(VALU_DEP_2) | instskip(NEXT) | instid1(VALU_DEP_2)
	v_fma_f64 v[101:102], v[97:98], v[233:234], v[101:102]
	v_fma_f64 v[97:98], v[97:98], v[229:230], -v[99:100]
	;; [unrolled: 5-line block ×3, first 2 shown]
	v_mul_f64_e32 v[77:78], v[211:212], v[87:88]
	v_add_f64_e32 v[79:80], v[75:76], v[143:144]
	s_delay_alu instid0(VALU_DEP_2) | instskip(SKIP_1) | instid1(VALU_DEP_3)
	v_fma_f64 v[111:112], v[85:86], v[213:214], v[77:78]
	v_mul_f64_e32 v[77:78], v[213:214], v[87:88]
	v_add_f64_e32 v[79:80], v[79:80], v[147:148]
	s_delay_alu instid0(VALU_DEP_2) | instskip(SKIP_1) | instid1(VALU_DEP_1)
	v_fma_f64 v[183:184], v[85:86], v[211:212], -v[77:78]
	v_mul_f64_e32 v[77:78], v[217:218], v[83:84]
	v_fma_f64 v[187:188], v[81:82], v[219:220], v[77:78]
	v_mul_f64_e32 v[77:78], v[219:220], v[83:84]
	v_mul_f64_e32 v[83:84], v[79:80], v[129:130]
	s_delay_alu instid0(VALU_DEP_2) | instskip(SKIP_1) | instid1(VALU_DEP_1)
	v_fma_f64 v[189:190], v[81:82], v[217:218], -v[77:78]
	v_mul_f64_e32 v[77:78], v[227:228], v[95:96]
	v_fma_f64 v[191:192], v[93:94], v[231:232], v[77:78]
	v_mul_f64_e32 v[77:78], v[231:232], v[95:96]
	s_delay_alu instid0(VALU_DEP_1) | instskip(SKIP_1) | instid1(VALU_DEP_1)
	v_fma_f64 v[193:194], v[93:94], v[227:228], -v[77:78]
	v_mul_f64_e32 v[77:78], v[237:238], v[91:92]
	v_fma_f64 v[195:196], v[89:90], v[247:248], v[77:78]
	v_mul_f64_e32 v[77:78], v[247:248], v[91:92]
	s_delay_alu instid0(VALU_DEP_1) | instskip(SKIP_1) | instid1(VALU_DEP_1)
	v_fma_f64 v[197:198], v[89:90], v[237:238], -v[77:78]
	v_add_f64_e32 v[77:78], v[73:74], v[141:142]
	v_add_f64_e32 v[77:78], v[77:78], v[145:146]
	s_delay_alu instid0(VALU_DEP_1) | instskip(SKIP_2) | instid1(VALU_DEP_3)
	v_mul_f64_e32 v[81:82], v[77:78], v[129:130]
	v_fma_f64 v[77:78], v[77:78], v[249:250], -v[83:84]
	v_add_f64_e32 v[83:84], v[71:72], v[151:152]
	v_fma_f64 v[79:80], v[79:80], v[249:250], v[81:82]
	v_add_f64_e32 v[81:82], v[69:70], v[149:150]
	s_delay_alu instid0(VALU_DEP_3) | instskip(NEXT) | instid1(VALU_DEP_2)
	v_add_f64_e32 v[83:84], v[83:84], v[155:156]
	v_add_f64_e32 v[81:82], v[81:82], v[153:154]
	s_delay_alu instid0(VALU_DEP_2) | instskip(NEXT) | instid1(VALU_DEP_2)
	v_mul_f64_e32 v[87:88], v[83:84], v[117:118]
	v_mul_f64_e32 v[85:86], v[81:82], v[117:118]
	s_delay_alu instid0(VALU_DEP_2) | instskip(SKIP_1) | instid1(VALU_DEP_3)
	v_fma_f64 v[81:82], v[81:82], v[131:132], -v[87:88]
	v_add_f64_e32 v[87:88], v[59:60], v[167:168]
	v_fma_f64 v[83:84], v[83:84], v[131:132], v[85:86]
	v_add_f64_e32 v[85:86], v[57:58], v[165:166]
	s_delay_alu instid0(VALU_DEP_3) | instskip(NEXT) | instid1(VALU_DEP_2)
	v_add_f64_e32 v[87:88], v[87:88], v[171:172]
	v_add_f64_e32 v[85:86], v[85:86], v[169:170]
	s_delay_alu instid0(VALU_DEP_2) | instskip(NEXT) | instid1(VALU_DEP_2)
	v_mul_f64_e32 v[91:92], v[87:88], v[121:122]
	v_mul_f64_e32 v[89:90], v[85:86], v[121:122]
	s_delay_alu instid0(VALU_DEP_2) | instskip(SKIP_1) | instid1(VALU_DEP_3)
	v_fma_f64 v[85:86], v[85:86], v[119:120], -v[91:92]
	v_add_f64_e32 v[91:92], v[67:68], v[175:176]
	v_fma_f64 v[87:88], v[87:88], v[119:120], v[89:90]
	v_add_f64_e32 v[89:90], v[65:66], v[173:174]
	s_delay_alu instid0(VALU_DEP_3) | instskip(NEXT) | instid1(VALU_DEP_2)
	v_add_f64_e32 v[91:92], v[91:92], v[179:180]
	v_add_f64_e32 v[89:90], v[89:90], v[177:178]
	s_delay_alu instid0(VALU_DEP_2) | instskip(NEXT) | instid1(VALU_DEP_2)
	v_mul_f64_e32 v[95:96], v[91:92], v[101:102]
	v_mul_f64_e32 v[93:94], v[89:90], v[101:102]
	s_delay_alu instid0(VALU_DEP_2) | instskip(SKIP_2) | instid1(VALU_DEP_4)
	v_fma_f64 v[89:90], v[89:90], v[97:98], -v[95:96]
	v_add_f64_e32 v[95:96], v[63:64], v[159:160]
	v_add_f64_e64 v[101:102], v[143:144], -v[147:148]
	v_fma_f64 v[91:92], v[91:92], v[97:98], v[93:94]
	v_add_f64_e32 v[93:94], v[61:62], v[157:158]
	s_delay_alu instid0(VALU_DEP_4) | instskip(NEXT) | instid1(VALU_DEP_2)
	v_add_f64_e32 v[95:96], v[95:96], v[163:164]
	v_add_f64_e32 v[93:94], v[93:94], v[161:162]
	s_delay_alu instid0(VALU_DEP_1) | instskip(NEXT) | instid1(VALU_DEP_3)
	v_mul_f64_e32 v[97:98], v[93:94], v[99:100]
	v_mul_f64_e32 v[99:100], v[95:96], v[99:100]
	s_delay_alu instid0(VALU_DEP_2) | instskip(SKIP_1) | instid1(VALU_DEP_3)
	v_fma_f64 v[95:96], v[95:96], v[103:104], v[97:98]
	v_add_f64_e32 v[97:98], v[143:144], v[147:148]
	v_fma_f64 v[93:94], v[93:94], v[103:104], -v[99:100]
	v_add_f64_e64 v[103:104], v[141:142], -v[145:146]
	s_delay_alu instid0(VALU_DEP_3) | instskip(SKIP_1) | instid1(VALU_DEP_1)
	v_fma_f64 v[97:98], v[97:98], -0.5, v[75:76]
	v_add_f64_e32 v[75:76], v[141:142], v[145:146]
	v_fma_f64 v[99:100], v[75:76], -0.5, v[73:74]
	s_wait_alu 0xfffe
	s_delay_alu instid0(VALU_DEP_3) | instskip(SKIP_1) | instid1(VALU_DEP_3)
	v_fma_f64 v[75:76], v[103:104], s[2:3], v[97:98]
	v_fma_f64 v[97:98], v[103:104], s[0:1], v[97:98]
	;; [unrolled: 1-line block ×4, first 2 shown]
	s_delay_alu instid0(VALU_DEP_3) | instskip(NEXT) | instid1(VALU_DEP_3)
	v_mul_f64_e32 v[103:104], v[97:98], v[133:134]
	v_mul_f64_e32 v[117:118], v[73:74], v[105:106]
	s_delay_alu instid0(VALU_DEP_3) | instskip(SKIP_1) | instid1(VALU_DEP_3)
	v_mul_f64_e32 v[99:100], v[101:102], v[133:134]
	v_mul_f64_e32 v[105:106], v[75:76], v[105:106]
	v_fma_f64 v[75:76], v[75:76], v[135:136], v[117:118]
	s_delay_alu instid0(VALU_DEP_3)
	v_fma_f64 v[99:100], v[97:98], v[123:124], v[99:100]
	v_fma_f64 v[97:98], v[101:102], v[123:124], -v[103:104]
	v_add_f64_e32 v[101:102], v[151:152], v[155:156]
	v_fma_f64 v[73:74], v[73:74], v[135:136], -v[105:106]
	v_add_f64_e64 v[105:106], v[151:152], -v[155:156]
	v_add_f64_e64 v[117:118], v[149:150], -v[153:154]
	s_delay_alu instid0(VALU_DEP_4) | instskip(SKIP_1) | instid1(VALU_DEP_1)
	v_fma_f64 v[101:102], v[101:102], -0.5, v[71:72]
	v_add_f64_e32 v[71:72], v[149:150], v[153:154]
	v_fma_f64 v[103:104], v[71:72], -0.5, v[69:70]
	s_delay_alu instid0(VALU_DEP_3) | instskip(SKIP_1) | instid1(VALU_DEP_3)
	v_fma_f64 v[71:72], v[117:118], s[2:3], v[101:102]
	v_fma_f64 v[101:102], v[117:118], s[0:1], v[101:102]
	;; [unrolled: 1-line block ×4, first 2 shown]
	s_delay_alu instid0(VALU_DEP_2) | instskip(SKIP_1) | instid1(VALU_DEP_3)
	v_mul_f64_e32 v[119:120], v[69:70], v[109:110]
	v_mul_f64_e32 v[109:110], v[71:72], v[109:110]
	v_mul_f64_e32 v[103:104], v[105:106], v[113:114]
	s_delay_alu instid0(VALU_DEP_3) | instskip(NEXT) | instid1(VALU_DEP_3)
	v_fma_f64 v[71:72], v[71:72], v[115:116], v[119:120]
	v_fma_f64 v[69:70], v[69:70], v[115:116], -v[109:110]
	v_mul_f64_e32 v[109:110], v[101:102], v[113:114]
	s_delay_alu instid0(VALU_DEP_4) | instskip(SKIP_1) | instid1(VALU_DEP_3)
	v_fma_f64 v[103:104], v[101:102], v[107:108], v[103:104]
	v_add_f64_e64 v[113:114], v[173:174], -v[177:178]
	v_fma_f64 v[101:102], v[105:106], v[107:108], -v[109:110]
	v_add_f64_e32 v[105:106], v[175:176], v[179:180]
	v_add_f64_e64 v[109:110], v[175:176], -v[179:180]
	s_delay_alu instid0(VALU_DEP_2) | instskip(SKIP_1) | instid1(VALU_DEP_1)
	v_fma_f64 v[105:106], v[105:106], -0.5, v[67:68]
	v_add_f64_e32 v[67:68], v[173:174], v[177:178]
	v_fma_f64 v[107:108], v[67:68], -0.5, v[65:66]
	s_delay_alu instid0(VALU_DEP_3) | instskip(SKIP_1) | instid1(VALU_DEP_3)
	v_fma_f64 v[67:68], v[113:114], s[2:3], v[105:106]
	v_fma_f64 v[105:106], v[113:114], s[0:1], v[105:106]
	v_fma_f64 v[65:66], v[109:110], s[0:1], v[107:108]
	v_fma_f64 v[109:110], v[109:110], s[2:3], v[107:108]
	s_delay_alu instid0(VALU_DEP_3) | instskip(SKIP_1) | instid1(VALU_DEP_4)
	v_mul_f64_e32 v[113:114], v[105:106], v[191:192]
	v_mul_f64_e32 v[117:118], v[67:68], v[195:196]
	;; [unrolled: 1-line block ×3, first 2 shown]
	s_delay_alu instid0(VALU_DEP_4) | instskip(NEXT) | instid1(VALU_DEP_3)
	v_mul_f64_e32 v[107:108], v[109:110], v[191:192]
	v_fma_f64 v[65:66], v[65:66], v[197:198], -v[117:118]
	v_add_f64_e64 v[117:118], v[157:158], -v[161:162]
	s_delay_alu instid0(VALU_DEP_4) | instskip(NEXT) | instid1(VALU_DEP_4)
	v_fma_f64 v[67:68], v[67:68], v[197:198], v[115:116]
	v_fma_f64 v[107:108], v[105:106], v[193:194], v[107:108]
	v_fma_f64 v[105:106], v[109:110], v[193:194], -v[113:114]
	v_add_f64_e32 v[109:110], v[159:160], v[163:164]
	v_add_f64_e64 v[115:116], v[159:160], -v[163:164]
	s_delay_alu instid0(VALU_DEP_2) | instskip(SKIP_1) | instid1(VALU_DEP_1)
	v_fma_f64 v[109:110], v[109:110], -0.5, v[63:64]
	v_add_f64_e32 v[63:64], v[157:158], v[161:162]
	v_fma_f64 v[113:114], v[63:64], -0.5, v[61:62]
	s_delay_alu instid0(VALU_DEP_3) | instskip(SKIP_1) | instid1(VALU_DEP_3)
	v_fma_f64 v[63:64], v[117:118], s[2:3], v[109:110]
	v_fma_f64 v[109:110], v[117:118], s[0:1], v[109:110]
	;; [unrolled: 1-line block ×4, first 2 shown]
	s_delay_alu instid0(VALU_DEP_3) | instskip(SKIP_1) | instid1(VALU_DEP_4)
	v_mul_f64_e32 v[117:118], v[109:110], v[111:112]
	v_mul_f64_e32 v[121:122], v[63:64], v[187:188]
	;; [unrolled: 1-line block ×3, first 2 shown]
	s_delay_alu instid0(VALU_DEP_4) | instskip(NEXT) | instid1(VALU_DEP_3)
	v_mul_f64_e32 v[115:116], v[113:114], v[111:112]
	v_fma_f64 v[61:62], v[61:62], v[189:190], -v[121:122]
	s_delay_alu instid0(VALU_DEP_3) | instskip(NEXT) | instid1(VALU_DEP_3)
	v_fma_f64 v[63:64], v[63:64], v[189:190], v[119:120]
	v_fma_f64 v[111:112], v[109:110], v[183:184], v[115:116]
	v_fma_f64 v[109:110], v[113:114], v[183:184], -v[117:118]
	v_add_f64_e32 v[113:114], v[167:168], v[171:172]
	v_add_f64_e64 v[117:118], v[167:168], -v[171:172]
	v_add_f64_e64 v[119:120], v[165:166], -v[169:170]
	s_delay_alu instid0(VALU_DEP_3) | instskip(SKIP_1) | instid1(VALU_DEP_1)
	v_fma_f64 v[113:114], v[113:114], -0.5, v[59:60]
	v_add_f64_e32 v[59:60], v[165:166], v[169:170]
	v_fma_f64 v[115:116], v[59:60], -0.5, v[57:58]
	s_delay_alu instid0(VALU_DEP_3) | instskip(SKIP_1) | instid1(VALU_DEP_3)
	v_fma_f64 v[59:60], v[119:120], s[2:3], v[113:114]
	v_fma_f64 v[113:114], v[119:120], s[0:1], v[113:114]
	;; [unrolled: 1-line block ×4, first 2 shown]
	s_delay_alu instid0(VALU_DEP_3) | instskip(SKIP_1) | instid1(VALU_DEP_4)
	v_mul_f64_e32 v[119:120], v[113:114], v[125:126]
	v_mul_f64_e32 v[123:124], v[59:60], v[127:128]
	;; [unrolled: 1-line block ×3, first 2 shown]
	s_delay_alu instid0(VALU_DEP_4) | instskip(NEXT) | instid1(VALU_DEP_3)
	v_mul_f64_e32 v[115:116], v[117:118], v[125:126]
	v_fma_f64 v[57:58], v[57:58], v[181:182], -v[123:124]
	s_delay_alu instid0(VALU_DEP_3) | instskip(NEXT) | instid1(VALU_DEP_3)
	v_fma_f64 v[59:60], v[59:60], v[181:182], v[121:122]
	v_fma_f64 v[115:116], v[113:114], v[185:186], v[115:116]
	v_fma_f64 v[113:114], v[117:118], v[185:186], -v[119:120]
	s_wait_alu 0xfffd
	v_cndmask_b32_e64 v117, 0, 0x150, vcc_lo
	s_delay_alu instid0(VALU_DEP_1) | instskip(NEXT) | instid1(VALU_DEP_1)
	v_add_nc_u32_e32 v119, v242, v117
	v_mul_lo_u32 v117, s4, v119
	s_delay_alu instid0(VALU_DEP_1) | instskip(NEXT) | instid1(VALU_DEP_1)
	v_add3_u32 v139, v138, v117, s6
	v_lshlrev_b64_e32 v[117:118], 4, v[139:140]
	s_delay_alu instid0(VALU_DEP_1) | instskip(SKIP_1) | instid1(VALU_DEP_2)
	v_add_co_u32 v117, vcc_lo, s12, v117
	s_wait_alu 0xfffd
	v_add_co_ci_u32_e32 v118, vcc_lo, s13, v118, vcc_lo
	global_store_b128 v[117:118], v[85:88], off
	v_add_nc_u32_e32 v85, 0x70, v119
	s_delay_alu instid0(VALU_DEP_1) | instskip(NEXT) | instid1(VALU_DEP_1)
	v_mul_lo_u32 v85, s4, v85
	v_add3_u32 v139, v138, v85, s6
	s_delay_alu instid0(VALU_DEP_1) | instskip(NEXT) | instid1(VALU_DEP_1)
	v_lshlrev_b64_e32 v[85:86], 4, v[139:140]
	v_add_co_u32 v85, vcc_lo, s12, v85
	s_wait_alu 0xfffd
	s_delay_alu instid0(VALU_DEP_2)
	v_add_co_ci_u32_e32 v86, vcc_lo, s13, v86, vcc_lo
	global_store_b128 v[85:86], v[57:60], off
	v_add_nc_u32_e32 v57, 0xe0, v119
	scratch_load_b32 v119, off, off         ; 4-byte Folded Reload
	v_and_b32_e32 v60, 0xffff, v246
	v_mul_lo_u32 v57, s4, v57
	s_delay_alu instid0(VALU_DEP_2) | instskip(NEXT) | instid1(VALU_DEP_2)
	v_mad_u32_u24 v60, 0xe0, v60, v245
	v_add3_u32 v139, v138, v57, s6
	s_delay_alu instid0(VALU_DEP_1) | instskip(NEXT) | instid1(VALU_DEP_1)
	v_lshlrev_b64_e32 v[57:58], 4, v[139:140]
	v_add_co_u32 v57, vcc_lo, s12, v57
	s_wait_alu 0xfffd
	s_delay_alu instid0(VALU_DEP_2) | instskip(SKIP_4) | instid1(VALU_DEP_1)
	v_add_co_ci_u32_e32 v58, vcc_lo, s13, v58, vcc_lo
	v_cmp_lt_u32_e32 vcc_lo, 0x221, v0
	global_store_b128 v[57:58], v[113:116], off
	s_wait_alu 0xfffd
	v_cndmask_b32_e64 v57, 0, 0xe0, vcc_lo
	v_add_nc_u32_e32 v59, v239, v57
	s_delay_alu instid0(VALU_DEP_1) | instskip(NEXT) | instid1(VALU_DEP_1)
	v_mul_lo_u32 v57, s4, v59
	v_add3_u32 v139, v138, v57, s6
	s_delay_alu instid0(VALU_DEP_1) | instskip(NEXT) | instid1(VALU_DEP_1)
	v_lshlrev_b64_e32 v[57:58], 4, v[139:140]
	v_add_co_u32 v57, vcc_lo, s12, v57
	s_wait_alu 0xfffd
	s_delay_alu instid0(VALU_DEP_2) | instskip(SKIP_2) | instid1(VALU_DEP_1)
	v_add_co_ci_u32_e32 v58, vcc_lo, s13, v58, vcc_lo
	global_store_b128 v[57:58], v[81:84], off
	v_add_nc_u32_e32 v57, 0x70, v59
	v_mul_lo_u32 v57, s4, v57
	s_delay_alu instid0(VALU_DEP_1) | instskip(NEXT) | instid1(VALU_DEP_1)
	v_add3_u32 v139, v138, v57, s6
	v_lshlrev_b64_e32 v[57:58], 4, v[139:140]
	s_delay_alu instid0(VALU_DEP_1) | instskip(SKIP_1) | instid1(VALU_DEP_2)
	v_add_co_u32 v57, vcc_lo, s12, v57
	s_wait_alu 0xfffd
	v_add_co_ci_u32_e32 v58, vcc_lo, s13, v58, vcc_lo
	global_store_b128 v[57:58], v[69:72], off
	v_add_nc_u32_e32 v57, 0xe0, v59
	v_and_b32_e32 v69, 0xffff, v244
	v_add_nc_u32_e32 v70, 0x70, v60
	s_delay_alu instid0(VALU_DEP_3) | instskip(NEXT) | instid1(VALU_DEP_2)
	v_mul_lo_u32 v57, s4, v57
	v_mul_lo_u32 v70, s4, v70
	s_delay_alu instid0(VALU_DEP_2) | instskip(NEXT) | instid1(VALU_DEP_1)
	v_add3_u32 v139, v138, v57, s6
	v_lshlrev_b64_e32 v[57:58], 4, v[139:140]
	s_delay_alu instid0(VALU_DEP_1) | instskip(SKIP_1) | instid1(VALU_DEP_2)
	v_add_co_u32 v57, vcc_lo, s12, v57
	s_wait_alu 0xfffd
	v_add_co_ci_u32_e32 v58, vcc_lo, s13, v58, vcc_lo
	v_cmp_lt_u32_e32 vcc_lo, 0x1a3, v0
	global_store_b128 v[57:58], v[101:104], off
	s_wait_alu 0xfffd
	v_cndmask_b32_e64 v57, 0, 0xe0, vcc_lo
	s_delay_alu instid0(VALU_DEP_1) | instskip(NEXT) | instid1(VALU_DEP_1)
	v_add_nc_u32_e32 v59, v255, v57
	v_mul_lo_u32 v57, s4, v59
	s_delay_alu instid0(VALU_DEP_1) | instskip(NEXT) | instid1(VALU_DEP_1)
	v_add3_u32 v139, v138, v57, s6
	v_lshlrev_b64_e32 v[57:58], 4, v[139:140]
	s_delay_alu instid0(VALU_DEP_1) | instskip(SKIP_1) | instid1(VALU_DEP_2)
	v_add_co_u32 v57, vcc_lo, s12, v57
	s_wait_alu 0xfffd
	v_add_co_ci_u32_e32 v58, vcc_lo, s13, v58, vcc_lo
	global_store_b128 v[57:58], v[77:80], off
	v_add_nc_u32_e32 v57, 0x70, v59
	v_add_nc_u32_e32 v59, 0xe0, v59
	v_mad_u32_u24 v77, 0xe0, v69, v243
	v_mul_lo_u32 v69, s4, v60
	s_delay_alu instid0(VALU_DEP_4) | instskip(NEXT) | instid1(VALU_DEP_4)
	v_mul_lo_u32 v57, s4, v57
	v_mul_lo_u32 v59, s4, v59
	s_delay_alu instid0(VALU_DEP_2) | instskip(NEXT) | instid1(VALU_DEP_1)
	v_add3_u32 v139, v138, v57, s6
	v_lshlrev_b64_e32 v[57:58], 4, v[139:140]
	s_delay_alu instid0(VALU_DEP_3) | instskip(SKIP_2) | instid1(VALU_DEP_4)
	v_add3_u32 v139, v138, v59, s6
	v_add_nc_u32_e32 v59, 0xe0, v60
	v_add_nc_u32_e32 v60, 0x70, v77
	v_add_co_u32 v57, vcc_lo, s12, v57
	s_wait_alu 0xfffd
	v_add_co_ci_u32_e32 v58, vcc_lo, s13, v58, vcc_lo
	v_mul_lo_u32 v71, s4, v59
	global_store_b128 v[57:58], v[73:76], off
	v_lshlrev_b64_e32 v[57:58], 4, v[139:140]
	v_add3_u32 v139, v138, v69, s6
	v_mul_lo_u32 v75, s4, v60
	v_mul_lo_u32 v73, s4, v77
	s_delay_alu instid0(VALU_DEP_3) | instskip(SKIP_4) | instid1(VALU_DEP_3)
	v_lshlrev_b64_e32 v[59:60], 4, v[139:140]
	v_add3_u32 v139, v138, v70, s6
	v_add_co_u32 v57, vcc_lo, s12, v57
	s_wait_alu 0xfffd
	v_add_co_ci_u32_e32 v58, vcc_lo, s13, v58, vcc_lo
	v_lshlrev_b64_e32 v[69:70], 4, v[139:140]
	v_add3_u32 v139, v138, v71, s6
	v_add_co_u32 v59, vcc_lo, s12, v59
	s_wait_alu 0xfffd
	v_add_co_ci_u32_e32 v60, vcc_lo, s13, v60, vcc_lo
	s_delay_alu instid0(VALU_DEP_3) | instskip(SKIP_4) | instid1(VALU_DEP_3)
	v_lshlrev_b64_e32 v[71:72], 4, v[139:140]
	v_add3_u32 v139, v138, v73, s6
	v_add_co_u32 v69, vcc_lo, s12, v69
	s_wait_alu 0xfffd
	v_add_co_ci_u32_e32 v70, vcc_lo, s13, v70, vcc_lo
	v_lshlrev_b64_e32 v[73:74], 4, v[139:140]
	v_add3_u32 v139, v138, v75, s6
	v_add_nc_u32_e32 v75, 0xe0, v77
	s_clause 0x1
	global_store_b128 v[57:58], v[97:100], off
	global_store_b128 v[59:60], v[89:92], off
	v_add_co_u32 v57, vcc_lo, s12, v71
	v_lshlrev_b64_e32 v[59:60], 4, v[139:140]
	v_mul_lo_u32 v75, s4, v75
	s_wait_alu 0xfffd
	v_add_co_ci_u32_e32 v58, vcc_lo, s13, v72, vcc_lo
	v_add_co_u32 v71, vcc_lo, s12, v73
	s_wait_alu 0xfffd
	v_add_co_ci_u32_e32 v72, vcc_lo, s13, v74, vcc_lo
	v_add_co_u32 v59, vcc_lo, s12, v59
	v_add3_u32 v139, v138, v75, s6
	s_wait_alu 0xfffd
	v_add_co_ci_u32_e32 v60, vcc_lo, s13, v60, vcc_lo
	s_delay_alu instid0(VALU_DEP_2) | instskip(NEXT) | instid1(VALU_DEP_1)
	v_lshlrev_b64_e32 v[73:74], 4, v[139:140]
	v_add_co_u32 v73, vcc_lo, s12, v73
	s_wait_alu 0xfffd
	s_delay_alu instid0(VALU_DEP_2)
	v_add_co_ci_u32_e32 v74, vcc_lo, s13, v74, vcc_lo
	s_clause 0x4
	global_store_b128 v[69:70], v[65:68], off
	global_store_b128 v[57:58], v[105:108], off
	global_store_b128 v[71:72], v[93:96], off
	global_store_b128 v[59:60], v[61:64], off
	global_store_b128 v[73:74], v[109:112], off
.LBB0_54:
	s_wait_alu 0xfffe
	s_or_b32 exec_lo, exec_lo, s5
	v_cmp_gt_u32_e64 s0, 42, v0
	v_cmp_lt_u32_e32 vcc_lo, 41, v0
	s_wait_alu 0xf1ff
	s_delay_alu instid0(VALU_DEP_2) | instskip(SKIP_3) | instid1(VALU_DEP_1)
	v_cndmask_b32_e64 v0, 0, 1, s0
	s_or_b32 vcc_lo, vcc_lo, s30
	s_mov_b32 s0, exec_lo
	s_wait_alu 0xfffe
	v_cndmask_b32_e32 v0, v241, v0, vcc_lo
	s_delay_alu instid0(VALU_DEP_1) | instskip(NEXT) | instid1(VALU_DEP_1)
	v_and_b32_e32 v0, 1, v0
	v_cmpx_eq_u32_e32 1, v0
	s_cbranch_execz .LBB0_56
; %bb.55:
	s_wait_loadcnt_dscnt 0x901
	v_mul_f64_e32 v[57:58], v[3:4], v[31:32]
	v_mul_f64_e32 v[31:32], v[1:2], v[31:32]
	s_wait_dscnt 0x0
	v_mul_f64_e32 v[59:60], v[5:6], v[27:28]
	v_mul_f64_e32 v[27:28], v[7:8], v[27:28]
	s_wait_loadcnt 0x7
	v_mul_f64_e32 v[61:62], v[35:36], v[39:40]
	s_wait_loadcnt 0x4
	;; [unrolled: 2-line block ×3, first 2 shown]
	v_mul_f64_e32 v[65:66], v[51:52], v[55:56]
	s_mov_b32 s0, 0xe8584caa
	s_mov_b32 s1, 0x3febb67a
	;; [unrolled: 1-line block ×3, first 2 shown]
	s_wait_alu 0xfffe
	s_mov_b32 s2, s0
	v_fma_f64 v[0:1], v[1:2], v[29:30], -v[57:58]
	v_fma_f64 v[2:3], v[3:4], v[29:30], v[31:32]
	v_fma_f64 v[7:8], v[7:8], v[25:26], v[59:60]
	v_fma_f64 v[4:5], v[5:6], v[25:26], -v[27:28]
	v_mul_f64_e32 v[25:26], v[33:34], v[39:40]
	v_mul_f64_e32 v[27:28], v[41:42], v[47:48]
	v_fma_f64 v[31:32], v[33:34], v[37:38], -v[61:62]
	v_mul_f64_e32 v[29:30], v[49:50], v[55:56]
	v_fma_f64 v[33:34], v[41:42], v[45:46], -v[63:64]
	v_fma_f64 v[39:40], v[49:50], v[53:54], -v[65:66]
	v_add_f64_e32 v[41:42], v[2:3], v[7:8]
	v_add_f64_e32 v[47:48], v[0:1], v[4:5]
	v_fma_f64 v[25:26], v[35:36], v[37:38], v[25:26]
	v_fma_f64 v[27:28], v[43:44], v[45:46], v[27:28]
	v_add_f64_e32 v[35:36], v[9:10], v[0:1]
	v_add_f64_e64 v[37:38], v[2:3], -v[7:8]
	v_add_f64_e32 v[2:3], v[11:12], v[2:3]
	v_mul_f64_e32 v[43:44], v[31:32], v[15:16]
	v_fma_f64 v[29:30], v[51:52], v[53:54], v[29:30]
	v_add_f64_e64 v[0:1], v[0:1], -v[4:5]
	v_mul_f64_e32 v[45:46], v[33:34], v[19:20]
	s_wait_loadcnt 0x0
	v_mul_f64_e32 v[49:50], v[39:40], v[23:24]
	v_fma_f64 v[11:12], v[41:42], -0.5, v[11:12]
	v_fma_f64 v[9:10], v[47:48], -0.5, v[9:10]
	v_mul_f64_e32 v[15:16], v[25:26], v[15:16]
	v_mul_f64_e32 v[19:20], v[27:28], v[19:20]
	v_add_f64_e32 v[4:5], v[35:36], v[4:5]
	v_add_f64_e32 v[2:3], v[2:3], v[7:8]
	v_fma_f64 v[6:7], v[13:14], v[25:26], v[43:44]
	v_mul_f64_e32 v[23:24], v[29:30], v[23:24]
	v_fma_f64 v[25:26], v[17:18], v[27:28], v[45:46]
	v_fma_f64 v[27:28], v[21:22], v[29:30], v[49:50]
	s_wait_alu 0xfffe
	v_fma_f64 v[29:30], v[0:1], s[2:3], v[11:12]
	v_fma_f64 v[35:36], v[37:38], s[0:1], v[9:10]
	;; [unrolled: 1-line block ×4, first 2 shown]
	v_fma_f64 v[13:14], v[13:14], v[31:32], -v[15:16]
	v_fma_f64 v[15:16], v[17:18], v[33:34], -v[19:20]
	v_and_b32_e32 v10, 0xffff, v119
	v_mul_f64_e32 v[0:1], v[2:3], v[6:7]
	v_mul_f64_e32 v[6:7], v[4:5], v[6:7]
	v_fma_f64 v[17:18], v[21:22], v[39:40], -v[23:24]
	v_mul_f64_e32 v[19:20], v[29:30], v[25:26]
	v_mul_f64_e32 v[21:22], v[35:36], v[25:26]
	;; [unrolled: 1-line block ×4, first 2 shown]
	v_fma_f64 v[0:1], v[4:5], v[13:14], -v[0:1]
	v_fma_f64 v[2:3], v[2:3], v[13:14], v[6:7]
	v_mov_b32_e32 v13, 0
	v_mad_u32_u24 v27, 0xe0, v10, v240
	s_delay_alu instid0(VALU_DEP_1)
	v_mul_lo_u32 v28, s4, v27
	v_add_nc_u32_e32 v14, 0xe0, v27
	v_fma_f64 v[4:5], v[35:36], v[15:16], -v[19:20]
	v_fma_f64 v[6:7], v[29:30], v[15:16], v[21:22]
	v_fma_f64 v[8:9], v[8:9], v[17:18], -v[23:24]
	v_fma_f64 v[10:11], v[11:12], v[17:18], v[25:26]
	v_add_nc_u32_e32 v12, 0x70, v27
	v_mul_lo_u32 v18, s4, v14
	s_delay_alu instid0(VALU_DEP_2) | instskip(SKIP_1) | instid1(VALU_DEP_1)
	v_mul_lo_u32 v16, s4, v12
	v_add3_u32 v12, v138, v28, s6
	v_lshlrev_b64_e32 v[14:15], 4, v[12:13]
	s_delay_alu instid0(VALU_DEP_3) | instskip(NEXT) | instid1(VALU_DEP_2)
	v_add3_u32 v12, v138, v16, s6
	v_add_co_u32 v14, vcc_lo, s12, v14
	s_delay_alu instid0(VALU_DEP_2) | instskip(SKIP_3) | instid1(VALU_DEP_2)
	v_lshlrev_b64_e32 v[16:17], 4, v[12:13]
	v_add3_u32 v12, v138, v18, s6
	s_wait_alu 0xfffd
	v_add_co_ci_u32_e32 v15, vcc_lo, s13, v15, vcc_lo
	v_lshlrev_b64_e32 v[12:13], 4, v[12:13]
	s_delay_alu instid0(VALU_DEP_4) | instskip(SKIP_2) | instid1(VALU_DEP_3)
	v_add_co_u32 v16, vcc_lo, s12, v16
	s_wait_alu 0xfffd
	v_add_co_ci_u32_e32 v17, vcc_lo, s13, v17, vcc_lo
	v_add_co_u32 v12, vcc_lo, s12, v12
	s_wait_alu 0xfffd
	v_add_co_ci_u32_e32 v13, vcc_lo, s13, v13, vcc_lo
	s_clause 0x2
	global_store_b128 v[14:15], v[0:3], off
	global_store_b128 v[16:17], v[4:7], off
	;; [unrolled: 1-line block ×3, first 2 shown]
.LBB0_56:
	s_endpgm
	.section	.rodata,"a",@progbits
	.p2align	6, 0x0
	.amdhsa_kernel fft_rtc_fwd_len336_factors_7_16_3_wgs_126_tpt_21_dim3_dp_op_CI_CI_sbcc_twdbase8_3step_dirReg_intrinsicReadWrite
		.amdhsa_group_segment_fixed_size 0
		.amdhsa_private_segment_fixed_size 8
		.amdhsa_kernarg_size 104
		.amdhsa_user_sgpr_count 2
		.amdhsa_user_sgpr_dispatch_ptr 0
		.amdhsa_user_sgpr_queue_ptr 0
		.amdhsa_user_sgpr_kernarg_segment_ptr 1
		.amdhsa_user_sgpr_dispatch_id 0
		.amdhsa_user_sgpr_private_segment_size 0
		.amdhsa_wavefront_size32 1
		.amdhsa_uses_dynamic_stack 0
		.amdhsa_enable_private_segment 1
		.amdhsa_system_sgpr_workgroup_id_x 1
		.amdhsa_system_sgpr_workgroup_id_y 0
		.amdhsa_system_sgpr_workgroup_id_z 0
		.amdhsa_system_sgpr_workgroup_info 0
		.amdhsa_system_vgpr_workitem_id 0
		.amdhsa_next_free_vgpr 256
		.amdhsa_next_free_sgpr 32
		.amdhsa_reserve_vcc 1
		.amdhsa_float_round_mode_32 0
		.amdhsa_float_round_mode_16_64 0
		.amdhsa_float_denorm_mode_32 3
		.amdhsa_float_denorm_mode_16_64 3
		.amdhsa_fp16_overflow 0
		.amdhsa_workgroup_processor_mode 1
		.amdhsa_memory_ordered 1
		.amdhsa_forward_progress 0
		.amdhsa_round_robin_scheduling 0
		.amdhsa_exception_fp_ieee_invalid_op 0
		.amdhsa_exception_fp_denorm_src 0
		.amdhsa_exception_fp_ieee_div_zero 0
		.amdhsa_exception_fp_ieee_overflow 0
		.amdhsa_exception_fp_ieee_underflow 0
		.amdhsa_exception_fp_ieee_inexact 0
		.amdhsa_exception_int_div_zero 0
	.end_amdhsa_kernel
	.text
.Lfunc_end0:
	.size	fft_rtc_fwd_len336_factors_7_16_3_wgs_126_tpt_21_dim3_dp_op_CI_CI_sbcc_twdbase8_3step_dirReg_intrinsicReadWrite, .Lfunc_end0-fft_rtc_fwd_len336_factors_7_16_3_wgs_126_tpt_21_dim3_dp_op_CI_CI_sbcc_twdbase8_3step_dirReg_intrinsicReadWrite
                                        ; -- End function
	.section	.AMDGPU.csdata,"",@progbits
; Kernel info:
; codeLenInByte = 14096
; NumSgprs: 34
; NumVgprs: 256
; ScratchSize: 8
; MemoryBound: 0
; FloatMode: 240
; IeeeMode: 1
; LDSByteSize: 0 bytes/workgroup (compile time only)
; SGPRBlocks: 4
; VGPRBlocks: 31
; NumSGPRsForWavesPerEU: 34
; NumVGPRsForWavesPerEU: 256
; Occupancy: 5
; WaveLimiterHint : 1
; COMPUTE_PGM_RSRC2:SCRATCH_EN: 1
; COMPUTE_PGM_RSRC2:USER_SGPR: 2
; COMPUTE_PGM_RSRC2:TRAP_HANDLER: 0
; COMPUTE_PGM_RSRC2:TGID_X_EN: 1
; COMPUTE_PGM_RSRC2:TGID_Y_EN: 0
; COMPUTE_PGM_RSRC2:TGID_Z_EN: 0
; COMPUTE_PGM_RSRC2:TIDIG_COMP_CNT: 0
	.text
	.p2alignl 7, 3214868480
	.fill 96, 4, 3214868480
	.type	__hip_cuid_60d222cc5094bf8e,@object ; @__hip_cuid_60d222cc5094bf8e
	.section	.bss,"aw",@nobits
	.globl	__hip_cuid_60d222cc5094bf8e
__hip_cuid_60d222cc5094bf8e:
	.byte	0                               ; 0x0
	.size	__hip_cuid_60d222cc5094bf8e, 1

	.ident	"AMD clang version 19.0.0git (https://github.com/RadeonOpenCompute/llvm-project roc-6.4.0 25133 c7fe45cf4b819c5991fe208aaa96edf142730f1d)"
	.section	".note.GNU-stack","",@progbits
	.addrsig
	.addrsig_sym __hip_cuid_60d222cc5094bf8e
	.amdgpu_metadata
---
amdhsa.kernels:
  - .args:
      - .actual_access:  read_only
        .address_space:  global
        .offset:         0
        .size:           8
        .value_kind:     global_buffer
      - .address_space:  global
        .offset:         8
        .size:           8
        .value_kind:     global_buffer
      - .actual_access:  read_only
        .address_space:  global
        .offset:         16
        .size:           8
        .value_kind:     global_buffer
      - .actual_access:  read_only
        .address_space:  global
        .offset:         24
        .size:           8
        .value_kind:     global_buffer
      - .actual_access:  read_only
        .address_space:  global
        .offset:         32
        .size:           8
        .value_kind:     global_buffer
      - .offset:         40
        .size:           8
        .value_kind:     by_value
      - .actual_access:  read_only
        .address_space:  global
        .offset:         48
        .size:           8
        .value_kind:     global_buffer
      - .actual_access:  read_only
        .address_space:  global
        .offset:         56
        .size:           8
        .value_kind:     global_buffer
      - .offset:         64
        .size:           4
        .value_kind:     by_value
      - .actual_access:  read_only
        .address_space:  global
        .offset:         72
        .size:           8
        .value_kind:     global_buffer
      - .actual_access:  read_only
        .address_space:  global
        .offset:         80
        .size:           8
        .value_kind:     global_buffer
      - .actual_access:  read_only
        .address_space:  global
        .offset:         88
        .size:           8
        .value_kind:     global_buffer
      - .actual_access:  write_only
        .address_space:  global
        .offset:         96
        .size:           8
        .value_kind:     global_buffer
    .group_segment_fixed_size: 0
    .kernarg_segment_align: 8
    .kernarg_segment_size: 104
    .language:       OpenCL C
    .language_version:
      - 2
      - 0
    .max_flat_workgroup_size: 126
    .name:           fft_rtc_fwd_len336_factors_7_16_3_wgs_126_tpt_21_dim3_dp_op_CI_CI_sbcc_twdbase8_3step_dirReg_intrinsicReadWrite
    .private_segment_fixed_size: 8
    .sgpr_count:     34
    .sgpr_spill_count: 0
    .symbol:         fft_rtc_fwd_len336_factors_7_16_3_wgs_126_tpt_21_dim3_dp_op_CI_CI_sbcc_twdbase8_3step_dirReg_intrinsicReadWrite.kd
    .uniform_work_group_size: 1
    .uses_dynamic_stack: false
    .vgpr_count:     256
    .vgpr_spill_count: 1
    .wavefront_size: 32
    .workgroup_processor_mode: 1
amdhsa.target:   amdgcn-amd-amdhsa--gfx1201
amdhsa.version:
  - 1
  - 2
...

	.end_amdgpu_metadata
